;; amdgpu-corpus repo=ROCm/rocFFT kind=compiled arch=gfx1201 opt=O3
	.text
	.amdgcn_target "amdgcn-amd-amdhsa--gfx1201"
	.amdhsa_code_object_version 6
	.protected	fft_rtc_fwd_len3125_factors_5_5_5_5_5_wgs_125_tpt_125_halfLds_half_op_CI_CI_unitstride_sbrr_dirReg ; -- Begin function fft_rtc_fwd_len3125_factors_5_5_5_5_5_wgs_125_tpt_125_halfLds_half_op_CI_CI_unitstride_sbrr_dirReg
	.globl	fft_rtc_fwd_len3125_factors_5_5_5_5_5_wgs_125_tpt_125_halfLds_half_op_CI_CI_unitstride_sbrr_dirReg
	.p2align	8
	.type	fft_rtc_fwd_len3125_factors_5_5_5_5_5_wgs_125_tpt_125_halfLds_half_op_CI_CI_unitstride_sbrr_dirReg,@function
fft_rtc_fwd_len3125_factors_5_5_5_5_5_wgs_125_tpt_125_halfLds_half_op_CI_CI_unitstride_sbrr_dirReg: ; @fft_rtc_fwd_len3125_factors_5_5_5_5_5_wgs_125_tpt_125_halfLds_half_op_CI_CI_unitstride_sbrr_dirReg
; %bb.0:
	s_clause 0x2
	s_load_b128 s[8:11], s[0:1], 0x0
	s_load_b128 s[4:7], s[0:1], 0x58
	;; [unrolled: 1-line block ×3, first 2 shown]
	v_mul_u32_u24_e32 v1, 0x20d, v0
	v_mov_b32_e32 v3, 0
	s_delay_alu instid0(VALU_DEP_2) | instskip(NEXT) | instid1(VALU_DEP_1)
	v_lshrrev_b32_e32 v1, 16, v1
	v_add_nc_u32_e32 v5, ttmp9, v1
	v_mov_b32_e32 v1, 0
	v_mov_b32_e32 v2, 0
	;; [unrolled: 1-line block ×3, first 2 shown]
	s_wait_kmcnt 0x0
	v_cmp_lt_u64_e64 s2, s[10:11], 2
	s_delay_alu instid0(VALU_DEP_1)
	s_and_b32 vcc_lo, exec_lo, s2
	s_cbranch_vccnz .LBB0_8
; %bb.1:
	s_load_b64 s[2:3], s[0:1], 0x10
	v_mov_b32_e32 v1, 0
	v_mov_b32_e32 v2, 0
	s_add_nc_u64 s[16:17], s[14:15], 8
	s_add_nc_u64 s[18:19], s[12:13], 8
	s_mov_b64 s[20:21], 1
	s_delay_alu instid0(VALU_DEP_1)
	v_dual_mov_b32 v9, v2 :: v_dual_mov_b32 v8, v1
	s_wait_kmcnt 0x0
	s_add_nc_u64 s[22:23], s[2:3], 8
	s_mov_b32 s3, 0
.LBB0_2:                                ; =>This Inner Loop Header: Depth=1
	s_load_b64 s[24:25], s[22:23], 0x0
                                        ; implicit-def: $vgpr10_vgpr11
	s_mov_b32 s2, exec_lo
	s_wait_kmcnt 0x0
	v_or_b32_e32 v4, s25, v6
	s_delay_alu instid0(VALU_DEP_1)
	v_cmpx_ne_u64_e32 0, v[3:4]
	s_wait_alu 0xfffe
	s_xor_b32 s26, exec_lo, s2
	s_cbranch_execz .LBB0_4
; %bb.3:                                ;   in Loop: Header=BB0_2 Depth=1
	s_cvt_f32_u32 s2, s24
	s_cvt_f32_u32 s27, s25
	s_sub_nc_u64 s[30:31], 0, s[24:25]
	s_wait_alu 0xfffe
	s_delay_alu instid0(SALU_CYCLE_1) | instskip(SKIP_1) | instid1(SALU_CYCLE_2)
	s_fmamk_f32 s2, s27, 0x4f800000, s2
	s_wait_alu 0xfffe
	v_s_rcp_f32 s2, s2
	s_delay_alu instid0(TRANS32_DEP_1) | instskip(SKIP_1) | instid1(SALU_CYCLE_2)
	s_mul_f32 s2, s2, 0x5f7ffffc
	s_wait_alu 0xfffe
	s_mul_f32 s27, s2, 0x2f800000
	s_wait_alu 0xfffe
	s_delay_alu instid0(SALU_CYCLE_2) | instskip(SKIP_1) | instid1(SALU_CYCLE_2)
	s_trunc_f32 s27, s27
	s_wait_alu 0xfffe
	s_fmamk_f32 s2, s27, 0xcf800000, s2
	s_cvt_u32_f32 s29, s27
	s_wait_alu 0xfffe
	s_delay_alu instid0(SALU_CYCLE_1) | instskip(SKIP_1) | instid1(SALU_CYCLE_2)
	s_cvt_u32_f32 s28, s2
	s_wait_alu 0xfffe
	s_mul_u64 s[34:35], s[30:31], s[28:29]
	s_wait_alu 0xfffe
	s_mul_hi_u32 s37, s28, s35
	s_mul_i32 s36, s28, s35
	s_mul_hi_u32 s2, s28, s34
	s_mul_i32 s33, s29, s34
	s_wait_alu 0xfffe
	s_add_nc_u64 s[36:37], s[2:3], s[36:37]
	s_mul_hi_u32 s27, s29, s34
	s_mul_hi_u32 s38, s29, s35
	s_add_co_u32 s2, s36, s33
	s_wait_alu 0xfffe
	s_add_co_ci_u32 s2, s37, s27
	s_mul_i32 s34, s29, s35
	s_add_co_ci_u32 s35, s38, 0
	s_wait_alu 0xfffe
	s_add_nc_u64 s[34:35], s[2:3], s[34:35]
	s_wait_alu 0xfffe
	v_add_co_u32 v4, s2, s28, s34
	s_delay_alu instid0(VALU_DEP_1) | instskip(SKIP_1) | instid1(VALU_DEP_1)
	s_cmp_lg_u32 s2, 0
	s_add_co_ci_u32 s29, s29, s35
	v_readfirstlane_b32 s28, v4
	s_wait_alu 0xfffe
	s_delay_alu instid0(VALU_DEP_1)
	s_mul_u64 s[30:31], s[30:31], s[28:29]
	s_wait_alu 0xfffe
	s_mul_hi_u32 s35, s28, s31
	s_mul_i32 s34, s28, s31
	s_mul_hi_u32 s2, s28, s30
	s_mul_i32 s33, s29, s30
	s_wait_alu 0xfffe
	s_add_nc_u64 s[34:35], s[2:3], s[34:35]
	s_mul_hi_u32 s27, s29, s30
	s_mul_hi_u32 s28, s29, s31
	s_wait_alu 0xfffe
	s_add_co_u32 s2, s34, s33
	s_add_co_ci_u32 s2, s35, s27
	s_mul_i32 s30, s29, s31
	s_add_co_ci_u32 s31, s28, 0
	s_wait_alu 0xfffe
	s_add_nc_u64 s[30:31], s[2:3], s[30:31]
	s_wait_alu 0xfffe
	v_add_co_u32 v4, s2, v4, s30
	s_delay_alu instid0(VALU_DEP_1) | instskip(SKIP_1) | instid1(VALU_DEP_1)
	s_cmp_lg_u32 s2, 0
	s_add_co_ci_u32 s2, s29, s31
	v_mul_hi_u32 v7, v5, v4
	s_wait_alu 0xfffe
	v_mad_co_u64_u32 v[10:11], null, v5, s2, 0
	v_mad_co_u64_u32 v[12:13], null, v6, v4, 0
	;; [unrolled: 1-line block ×3, first 2 shown]
	s_delay_alu instid0(VALU_DEP_3) | instskip(SKIP_1) | instid1(VALU_DEP_4)
	v_add_co_u32 v4, vcc_lo, v7, v10
	s_wait_alu 0xfffd
	v_add_co_ci_u32_e32 v7, vcc_lo, 0, v11, vcc_lo
	s_delay_alu instid0(VALU_DEP_2) | instskip(SKIP_1) | instid1(VALU_DEP_2)
	v_add_co_u32 v4, vcc_lo, v4, v12
	s_wait_alu 0xfffd
	v_add_co_ci_u32_e32 v4, vcc_lo, v7, v13, vcc_lo
	s_wait_alu 0xfffd
	v_add_co_ci_u32_e32 v7, vcc_lo, 0, v15, vcc_lo
	s_delay_alu instid0(VALU_DEP_2) | instskip(SKIP_1) | instid1(VALU_DEP_2)
	v_add_co_u32 v4, vcc_lo, v4, v14
	s_wait_alu 0xfffd
	v_add_co_ci_u32_e32 v7, vcc_lo, 0, v7, vcc_lo
	s_delay_alu instid0(VALU_DEP_2) | instskip(SKIP_1) | instid1(VALU_DEP_3)
	v_mul_lo_u32 v12, s25, v4
	v_mad_co_u64_u32 v[10:11], null, s24, v4, 0
	v_mul_lo_u32 v13, s24, v7
	s_delay_alu instid0(VALU_DEP_2) | instskip(NEXT) | instid1(VALU_DEP_2)
	v_sub_co_u32 v10, vcc_lo, v5, v10
	v_add3_u32 v11, v11, v13, v12
	s_delay_alu instid0(VALU_DEP_1) | instskip(SKIP_1) | instid1(VALU_DEP_1)
	v_sub_nc_u32_e32 v12, v6, v11
	s_wait_alu 0xfffd
	v_subrev_co_ci_u32_e64 v12, s2, s25, v12, vcc_lo
	v_add_co_u32 v13, s2, v4, 2
	s_wait_alu 0xf1ff
	v_add_co_ci_u32_e64 v14, s2, 0, v7, s2
	v_sub_co_u32 v15, s2, v10, s24
	v_sub_co_ci_u32_e32 v11, vcc_lo, v6, v11, vcc_lo
	s_wait_alu 0xf1ff
	v_subrev_co_ci_u32_e64 v12, s2, 0, v12, s2
	s_delay_alu instid0(VALU_DEP_3) | instskip(NEXT) | instid1(VALU_DEP_3)
	v_cmp_le_u32_e32 vcc_lo, s24, v15
	v_cmp_eq_u32_e64 s2, s25, v11
	s_wait_alu 0xfffd
	v_cndmask_b32_e64 v15, 0, -1, vcc_lo
	v_cmp_le_u32_e32 vcc_lo, s25, v12
	s_wait_alu 0xfffd
	v_cndmask_b32_e64 v16, 0, -1, vcc_lo
	v_cmp_le_u32_e32 vcc_lo, s24, v10
	;; [unrolled: 3-line block ×3, first 2 shown]
	s_wait_alu 0xfffd
	v_cndmask_b32_e64 v17, 0, -1, vcc_lo
	v_cmp_eq_u32_e32 vcc_lo, s25, v12
	s_wait_alu 0xf1ff
	s_delay_alu instid0(VALU_DEP_2)
	v_cndmask_b32_e64 v10, v17, v10, s2
	s_wait_alu 0xfffd
	v_cndmask_b32_e32 v12, v16, v15, vcc_lo
	v_add_co_u32 v15, vcc_lo, v4, 1
	s_wait_alu 0xfffd
	v_add_co_ci_u32_e32 v16, vcc_lo, 0, v7, vcc_lo
	s_delay_alu instid0(VALU_DEP_3) | instskip(SKIP_1) | instid1(VALU_DEP_2)
	v_cmp_ne_u32_e32 vcc_lo, 0, v12
	s_wait_alu 0xfffd
	v_dual_cndmask_b32 v11, v16, v14 :: v_dual_cndmask_b32 v12, v15, v13
	v_cmp_ne_u32_e32 vcc_lo, 0, v10
	s_wait_alu 0xfffd
	s_delay_alu instid0(VALU_DEP_2)
	v_dual_cndmask_b32 v11, v7, v11 :: v_dual_cndmask_b32 v10, v4, v12
.LBB0_4:                                ;   in Loop: Header=BB0_2 Depth=1
	s_wait_alu 0xfffe
	s_and_not1_saveexec_b32 s2, s26
	s_cbranch_execz .LBB0_6
; %bb.5:                                ;   in Loop: Header=BB0_2 Depth=1
	v_cvt_f32_u32_e32 v4, s24
	s_sub_co_i32 s26, 0, s24
	s_delay_alu instid0(VALU_DEP_1) | instskip(NEXT) | instid1(TRANS32_DEP_1)
	v_rcp_iflag_f32_e32 v4, v4
	v_mul_f32_e32 v4, 0x4f7ffffe, v4
	s_delay_alu instid0(VALU_DEP_1) | instskip(SKIP_1) | instid1(VALU_DEP_1)
	v_cvt_u32_f32_e32 v4, v4
	s_wait_alu 0xfffe
	v_mul_lo_u32 v7, s26, v4
	s_delay_alu instid0(VALU_DEP_1) | instskip(NEXT) | instid1(VALU_DEP_1)
	v_mul_hi_u32 v7, v4, v7
	v_add_nc_u32_e32 v4, v4, v7
	s_delay_alu instid0(VALU_DEP_1) | instskip(NEXT) | instid1(VALU_DEP_1)
	v_mul_hi_u32 v4, v5, v4
	v_mul_lo_u32 v7, v4, s24
	v_add_nc_u32_e32 v10, 1, v4
	s_delay_alu instid0(VALU_DEP_2) | instskip(NEXT) | instid1(VALU_DEP_1)
	v_sub_nc_u32_e32 v7, v5, v7
	v_subrev_nc_u32_e32 v11, s24, v7
	v_cmp_le_u32_e32 vcc_lo, s24, v7
	s_wait_alu 0xfffd
	s_delay_alu instid0(VALU_DEP_2) | instskip(SKIP_1) | instid1(VALU_DEP_2)
	v_cndmask_b32_e32 v7, v7, v11, vcc_lo
	v_dual_mov_b32 v11, v3 :: v_dual_cndmask_b32 v4, v4, v10
	v_cmp_le_u32_e32 vcc_lo, s24, v7
	s_delay_alu instid0(VALU_DEP_2) | instskip(SKIP_1) | instid1(VALU_DEP_1)
	v_add_nc_u32_e32 v10, 1, v4
	s_wait_alu 0xfffd
	v_cndmask_b32_e32 v10, v4, v10, vcc_lo
.LBB0_6:                                ;   in Loop: Header=BB0_2 Depth=1
	s_wait_alu 0xfffe
	s_or_b32 exec_lo, exec_lo, s2
	v_mul_lo_u32 v4, v11, s24
	s_delay_alu instid0(VALU_DEP_2)
	v_mul_lo_u32 v7, v10, s25
	s_load_b64 s[26:27], s[18:19], 0x0
	v_mad_co_u64_u32 v[12:13], null, v10, s24, 0
	s_load_b64 s[24:25], s[16:17], 0x0
	s_add_nc_u64 s[20:21], s[20:21], 1
	s_add_nc_u64 s[16:17], s[16:17], 8
	s_wait_alu 0xfffe
	v_cmp_ge_u64_e64 s2, s[20:21], s[10:11]
	s_add_nc_u64 s[18:19], s[18:19], 8
	s_add_nc_u64 s[22:23], s[22:23], 8
	v_add3_u32 v4, v13, v7, v4
	v_sub_co_u32 v5, vcc_lo, v5, v12
	s_wait_alu 0xfffd
	s_delay_alu instid0(VALU_DEP_2) | instskip(SKIP_2) | instid1(VALU_DEP_1)
	v_sub_co_ci_u32_e32 v4, vcc_lo, v6, v4, vcc_lo
	s_and_b32 vcc_lo, exec_lo, s2
	s_wait_kmcnt 0x0
	v_mul_lo_u32 v6, s26, v4
	v_mul_lo_u32 v7, s27, v5
	v_mad_co_u64_u32 v[1:2], null, s26, v5, v[1:2]
	v_mul_lo_u32 v4, s24, v4
	v_mul_lo_u32 v12, s25, v5
	v_mad_co_u64_u32 v[8:9], null, s24, v5, v[8:9]
	s_delay_alu instid0(VALU_DEP_4) | instskip(NEXT) | instid1(VALU_DEP_2)
	v_add3_u32 v2, v7, v2, v6
	v_add3_u32 v9, v12, v9, v4
	s_wait_alu 0xfffe
	s_cbranch_vccnz .LBB0_9
; %bb.7:                                ;   in Loop: Header=BB0_2 Depth=1
	v_dual_mov_b32 v5, v10 :: v_dual_mov_b32 v6, v11
	s_branch .LBB0_2
.LBB0_8:
	v_dual_mov_b32 v9, v2 :: v_dual_mov_b32 v8, v1
	v_dual_mov_b32 v11, v6 :: v_dual_mov_b32 v10, v5
.LBB0_9:
	s_load_b64 s[0:1], s[0:1], 0x28
	v_mul_hi_u32 v37, 0x20c49bb, v0
	s_lshl_b64 s[10:11], s[10:11], 3
                                        ; implicit-def: $vgpr14
	s_wait_kmcnt 0x0
	v_cmp_gt_u64_e32 vcc_lo, s[0:1], v[10:11]
	v_cmp_le_u64_e64 s0, s[0:1], v[10:11]
	s_delay_alu instid0(VALU_DEP_1)
	s_and_saveexec_b32 s1, s0
	s_wait_alu 0xfffe
	s_xor_b32 s0, exec_lo, s1
; %bb.10:
	v_mul_u32_u24_e32 v1, 0x7d, v37
                                        ; implicit-def: $vgpr37
	s_delay_alu instid0(VALU_DEP_1)
	v_sub_nc_u32_e32 v14, v0, v1
                                        ; implicit-def: $vgpr0
                                        ; implicit-def: $vgpr1_vgpr2
; %bb.11:
	s_wait_alu 0xfffe
	s_or_saveexec_b32 s1, s0
	s_add_nc_u64 s[2:3], s[14:15], s[10:11]
                                        ; implicit-def: $vgpr20
                                        ; implicit-def: $vgpr25
                                        ; implicit-def: $vgpr21
                                        ; implicit-def: $vgpr19
                                        ; implicit-def: $vgpr22
                                        ; implicit-def: $vgpr18
                                        ; implicit-def: $vgpr23
                                        ; implicit-def: $vgpr24
                                        ; implicit-def: $vgpr3
                                        ; implicit-def: $vgpr17
                                        ; implicit-def: $vgpr31
                                        ; implicit-def: $vgpr30
                                        ; implicit-def: $vgpr32
                                        ; implicit-def: $vgpr28
                                        ; implicit-def: $vgpr33
                                        ; implicit-def: $vgpr27
                                        ; implicit-def: $vgpr34
                                        ; implicit-def: $vgpr29
                                        ; implicit-def: $vgpr4
                                        ; implicit-def: $vgpr15
                                        ; implicit-def: $vgpr44
                                        ; implicit-def: $vgpr43
                                        ; implicit-def: $vgpr45
                                        ; implicit-def: $vgpr41
                                        ; implicit-def: $vgpr46
                                        ; implicit-def: $vgpr40
                                        ; implicit-def: $vgpr47
                                        ; implicit-def: $vgpr42
                                        ; implicit-def: $vgpr7
                                        ; implicit-def: $vgpr12
                                        ; implicit-def: $vgpr50
                                        ; implicit-def: $vgpr49
                                        ; implicit-def: $vgpr51
                                        ; implicit-def: $vgpr48
                                        ; implicit-def: $vgpr52
                                        ; implicit-def: $vgpr39
                                        ; implicit-def: $vgpr53
                                        ; implicit-def: $vgpr36
                                        ; implicit-def: $vgpr16
                                        ; implicit-def: $vgpr6
                                        ; implicit-def: $vgpr55
                                        ; implicit-def: $vgpr54
                                        ; implicit-def: $vgpr56
                                        ; implicit-def: $vgpr35
                                        ; implicit-def: $vgpr57
                                        ; implicit-def: $vgpr26
                                        ; implicit-def: $vgpr58
                                        ; implicit-def: $vgpr38
                                        ; implicit-def: $vgpr5
                                        ; implicit-def: $vgpr13
	s_wait_alu 0xfffe
	s_xor_b32 exec_lo, exec_lo, s1
	s_cbranch_execz .LBB0_13
; %bb.12:
	s_add_nc_u64 s[10:11], s[12:13], s[10:11]
	v_lshlrev_b64_e32 v[1:2], 2, v[1:2]
	s_load_b64 s[10:11], s[10:11], 0x0
	s_wait_kmcnt 0x0
	v_mul_lo_u32 v5, s11, v10
	v_mul_lo_u32 v6, s10, v11
	v_mad_co_u64_u32 v[3:4], null, s10, v10, 0
	s_delay_alu instid0(VALU_DEP_1) | instskip(SKIP_1) | instid1(VALU_DEP_2)
	v_add3_u32 v4, v4, v6, v5
	v_mul_u32_u24_e32 v5, 0x7d, v37
	v_lshlrev_b64_e32 v[3:4], 2, v[3:4]
	s_delay_alu instid0(VALU_DEP_2) | instskip(NEXT) | instid1(VALU_DEP_2)
	v_sub_nc_u32_e32 v14, v0, v5
	v_add_co_u32 v0, s0, s4, v3
	s_wait_alu 0xf1ff
	s_delay_alu instid0(VALU_DEP_3) | instskip(NEXT) | instid1(VALU_DEP_3)
	v_add_co_ci_u32_e64 v3, s0, s5, v4, s0
	v_lshlrev_b32_e32 v4, 2, v14
	s_delay_alu instid0(VALU_DEP_3) | instskip(SKIP_1) | instid1(VALU_DEP_3)
	v_add_co_u32 v0, s0, v0, v1
	s_wait_alu 0xf1ff
	v_add_co_ci_u32_e64 v1, s0, v3, v2, s0
	s_delay_alu instid0(VALU_DEP_2) | instskip(SKIP_1) | instid1(VALU_DEP_2)
	v_add_co_u32 v0, s0, v0, v4
	s_wait_alu 0xf1ff
	v_add_co_ci_u32_e64 v1, s0, 0, v1, s0
	s_clause 0x18
	global_load_b32 v38, v[0:1], off offset:2500
	global_load_b32 v13, v[0:1], off
	global_load_b32 v26, v[0:1], off offset:5000
	global_load_b32 v35, v[0:1], off offset:7500
	;; [unrolled: 1-line block ×23, first 2 shown]
	s_wait_loadcnt 0x18
	v_lshrrev_b32_e32 v58, 16, v38
	s_wait_loadcnt 0x17
	v_lshrrev_b32_e32 v5, 16, v13
	;; [unrolled: 2-line block ×25, first 2 shown]
.LBB0_13:
	s_or_b32 exec_lo, exec_lo, s1
	v_add_f16_e32 v0, v35, v26
	v_add_f16_e32 v1, v38, v13
	v_sub_f16_e32 v60, v54, v35
	v_add_f16_e32 v61, v54, v38
	v_sub_f16_e32 v59, v57, v56
	v_fma_f16 v37, -0.5, v0, v13
	v_sub_f16_e32 v0, v38, v26
	v_add_f16_e32 v1, v26, v1
	v_sub_f16_e32 v63, v26, v38
	v_fmac_f16_e32 v13, -0.5, v61
	v_sub_f16_e32 v2, v58, v55
	v_add_f16_e32 v60, v60, v0
	v_add_f16_e32 v0, v35, v1
	v_sub_f16_e32 v1, v35, v54
	v_fmamk_f16 v61, v59, 0xbb9c, v13
	v_add_f16_e32 v65, v56, v57
	v_fmac_f16_e32 v13, 0x3b9c, v59
	v_add_f16_e32 v64, v54, v0
	v_add_f16_e32 v0, v58, v5
	;; [unrolled: 1-line block ×3, first 2 shown]
	v_fmamk_f16 v62, v2, 0x3b9c, v37
	v_fmac_f16_e32 v37, 0xbb9c, v2
	v_fmac_f16_e32 v61, 0x38b4, v2
	v_add_f16_e32 v1, v57, v0
	v_fma_f16 v0, -0.5, v65, v5
	v_sub_f16_e32 v54, v38, v54
	v_fmac_f16_e32 v13, 0xb8b4, v2
	v_fmac_f16_e32 v62, 0x38b4, v59
	v_add_f16_e32 v2, v56, v1
	v_fmac_f16_e32 v37, 0xb8b4, v59
	v_fmamk_f16 v1, v54, 0xbb9c, v0
	v_sub_f16_e32 v35, v26, v35
	v_sub_f16_e32 v26, v58, v57
	;; [unrolled: 1-line block ×3, first 2 shown]
	v_add_f16_e32 v59, v55, v58
	v_add_f16_e32 v2, v55, v2
	v_fmac_f16_e32 v0, 0x3b9c, v54
	v_sub_f16_e32 v57, v57, v58
	v_sub_f16_e32 v55, v56, v55
	v_fmac_f16_e32 v1, 0xb8b4, v35
	v_add_f16_e32 v26, v38, v26
	v_add_f16_e32 v56, v48, v39
	v_fmac_f16_e32 v0, 0x38b4, v35
	v_add_f16_e32 v55, v55, v57
	v_add_f16_e32 v57, v36, v6
	v_fmac_f16_e32 v5, -0.5, v59
	v_fmac_f16_e32 v1, 0x34f2, v26
	v_fma_f16 v56, -0.5, v56, v6
	v_sub_f16_e32 v58, v53, v50
	v_fmac_f16_e32 v0, 0x34f2, v26
	v_mul_f16_e32 v26, 0x34f2, v55
	v_add_f16_e32 v55, v39, v57
	v_add_f16_e32 v65, v49, v36
	v_fmac_f16_e32 v62, 0x34f2, v60
	v_fmac_f16_e32 v37, 0x34f2, v60
	;; [unrolled: 1-line block ×4, first 2 shown]
	v_fmamk_f16 v38, v35, 0x3b9c, v5
	v_fmamk_f16 v57, v58, 0x3b9c, v56
	v_sub_f16_e32 v59, v52, v51
	v_sub_f16_e32 v60, v36, v39
	;; [unrolled: 1-line block ×3, first 2 shown]
	v_fmac_f16_e32 v5, 0xbb9c, v35
	v_add_f16_e32 v35, v48, v55
	v_fmac_f16_e32 v6, -0.5, v65
	v_fmac_f16_e32 v56, 0xbb9c, v58
	v_add_f16_e32 v65, v53, v16
	v_fmac_f16_e32 v38, 0xb8b4, v54
	v_fmac_f16_e32 v57, 0x38b4, v59
	v_add_f16_e32 v55, v63, v60
	v_fmac_f16_e32 v5, 0x38b4, v54
	v_add_f16_e32 v54, v49, v35
	v_fmamk_f16 v60, v59, 0xbb9c, v6
	v_sub_f16_e32 v35, v39, v36
	v_sub_f16_e32 v63, v48, v49
	v_fmac_f16_e32 v56, 0xb8b4, v59
	v_add_f16_e32 v66, v51, v52
	v_fmac_f16_e32 v6, 0x3b9c, v59
	v_add_f16_e32 v59, v52, v65
	v_fmac_f16_e32 v57, 0x34f2, v55
	v_fmac_f16_e32 v60, 0x38b4, v58
	v_add_f16_e32 v63, v63, v35
	v_fma_f16 v35, -0.5, v66, v16
	v_sub_f16_e32 v49, v36, v49
	v_fmac_f16_e32 v56, 0x34f2, v55
	v_fmac_f16_e32 v6, 0xb8b4, v58
	v_add_f16_e32 v55, v51, v59
	v_fmac_f16_e32 v60, 0x34f2, v63
	v_fmamk_f16 v36, v49, 0xbb9c, v35
	v_sub_f16_e32 v48, v39, v48
	v_sub_f16_e32 v58, v53, v52
	;; [unrolled: 1-line block ×3, first 2 shown]
	v_fmac_f16_e32 v6, 0x34f2, v63
	v_add_f16_e32 v63, v50, v53
	v_add_f16_e32 v39, v50, v55
	v_fmac_f16_e32 v35, 0x3b9c, v49
	v_sub_f16_e32 v52, v52, v53
	v_sub_f16_e32 v50, v51, v50
	v_add_f16_e32 v51, v41, v40
	v_fmac_f16_e32 v36, 0xb8b4, v48
	v_add_f16_e32 v55, v59, v58
	v_fmac_f16_e32 v16, -0.5, v63
	v_fmac_f16_e32 v35, 0x38b4, v48
	v_add_f16_e32 v50, v50, v52
	v_add_f16_e32 v52, v42, v12
	v_fma_f16 v51, -0.5, v51, v12
	v_sub_f16_e32 v58, v47, v44
	v_add_f16_e32 v66, v43, v42
	v_fmac_f16_e32 v36, 0x34f2, v55
	v_fmamk_f16 v53, v48, 0x3b9c, v16
	v_fmac_f16_e32 v35, 0x34f2, v55
	v_add_f16_e32 v52, v40, v52
	v_fmamk_f16 v55, v58, 0x3b9c, v51
	v_sub_f16_e32 v59, v46, v45
	v_sub_f16_e32 v63, v42, v40
	;; [unrolled: 1-line block ×3, first 2 shown]
	v_fmac_f16_e32 v16, 0xbb9c, v48
	v_fmac_f16_e32 v12, -0.5, v66
	v_fmac_f16_e32 v51, 0xbb9c, v58
	v_add_f16_e32 v66, v47, v7
	v_fmac_f16_e32 v53, 0xb8b4, v49
	v_add_f16_e32 v48, v41, v52
	;; [unrolled: 2-line block ×3, first 2 shown]
	v_fmac_f16_e32 v16, 0x38b4, v49
	v_fmamk_f16 v49, v59, 0xbb9c, v12
	v_sub_f16_e32 v63, v40, v42
	v_sub_f16_e32 v65, v41, v43
	v_fmac_f16_e32 v51, 0xb8b4, v59
	v_add_f16_e32 v67, v45, v46
	v_fmac_f16_e32 v12, 0x3b9c, v59
	v_add_f16_e32 v59, v46, v66
	v_add_f16_e32 v48, v43, v48
	;; [unrolled: 1-line block ×3, first 2 shown]
	v_fma_f16 v65, -0.5, v67, v7
	v_sub_f16_e32 v42, v42, v43
	v_add_f16_e32 v43, v45, v59
	v_fmac_f16_e32 v55, 0x34f2, v52
	v_fmac_f16_e32 v49, 0x38b4, v58
	;; [unrolled: 1-line block ×4, first 2 shown]
	v_fmamk_f16 v52, v42, 0xbb9c, v65
	v_sub_f16_e32 v40, v40, v41
	v_sub_f16_e32 v41, v47, v46
	;; [unrolled: 1-line block ×3, first 2 shown]
	v_add_f16_e32 v59, v44, v47
	v_add_f16_e32 v43, v44, v43
	v_fmac_f16_e32 v65, 0x3b9c, v42
	v_sub_f16_e32 v46, v46, v47
	v_sub_f16_e32 v44, v45, v44
	v_add_f16_e32 v45, v28, v27
	v_fmac_f16_e32 v52, 0xb8b4, v40
	v_add_f16_e32 v41, v58, v41
	v_fmac_f16_e32 v7, -0.5, v59
	v_fmac_f16_e32 v65, 0x38b4, v40
	v_add_f16_e32 v44, v44, v46
	v_add_f16_e32 v46, v29, v15
	v_fma_f16 v45, -0.5, v45, v15
	v_sub_f16_e32 v58, v34, v31
	v_add_f16_e32 v67, v30, v29
	v_fmac_f16_e32 v49, 0x34f2, v63
	v_fmac_f16_e32 v12, 0x34f2, v63
	;; [unrolled: 1-line block ×3, first 2 shown]
	v_fmamk_f16 v47, v40, 0x3b9c, v7
	v_fmac_f16_e32 v65, 0x34f2, v41
	v_mul_f16_e32 v41, 0x34f2, v44
	v_add_f16_e32 v44, v27, v46
	v_fmamk_f16 v46, v58, 0x3b9c, v45
	v_sub_f16_e32 v59, v33, v32
	v_sub_f16_e32 v63, v29, v27
	;; [unrolled: 1-line block ×3, first 2 shown]
	v_fmac_f16_e32 v7, 0xbb9c, v40
	v_fmac_f16_e32 v15, -0.5, v67
	v_fmac_f16_e32 v45, 0xbb9c, v58
	v_add_f16_e32 v67, v34, v4
	v_fmac_f16_e32 v47, 0xb8b4, v42
	v_add_f16_e32 v40, v28, v44
	;; [unrolled: 2-line block ×3, first 2 shown]
	v_fmac_f16_e32 v7, 0x38b4, v42
	v_fmamk_f16 v42, v59, 0xbb9c, v15
	v_sub_f16_e32 v63, v27, v29
	v_sub_f16_e32 v66, v28, v30
	v_fmac_f16_e32 v45, 0xb8b4, v59
	v_add_f16_e32 v68, v32, v33
	v_fmac_f16_e32 v15, 0x3b9c, v59
	v_add_f16_e32 v59, v33, v67
	v_add_f16_e32 v40, v30, v40
	;; [unrolled: 1-line block ×3, first 2 shown]
	v_fma_f16 v66, -0.5, v68, v4
	v_sub_f16_e32 v29, v29, v30
	v_add_f16_e32 v30, v32, v59
	v_fmac_f16_e32 v46, 0x34f2, v44
	v_fmac_f16_e32 v42, 0x38b4, v58
	;; [unrolled: 1-line block ×4, first 2 shown]
	v_fmamk_f16 v44, v29, 0xbb9c, v66
	v_sub_f16_e32 v27, v27, v28
	v_sub_f16_e32 v28, v34, v33
	;; [unrolled: 1-line block ×3, first 2 shown]
	v_add_f16_e32 v59, v31, v34
	v_add_f16_e32 v30, v31, v30
	v_fmac_f16_e32 v66, 0x3b9c, v29
	v_sub_f16_e32 v33, v33, v34
	v_sub_f16_e32 v31, v32, v31
	v_fmac_f16_e32 v44, 0xb8b4, v27
	v_add_f16_e32 v28, v58, v28
	v_fmac_f16_e32 v4, -0.5, v59
	v_add_f16_e32 v32, v19, v18
	v_fmac_f16_e32 v66, 0x38b4, v27
	v_add_f16_e32 v31, v31, v33
	v_add_f16_e32 v33, v24, v17
	v_fmac_f16_e32 v44, 0x34f2, v28
	v_fmamk_f16 v34, v27, 0x3b9c, v4
	v_fma_f16 v32, -0.5, v32, v17
	v_sub_f16_e32 v58, v23, v20
	v_fmac_f16_e32 v66, 0x34f2, v28
	v_mul_f16_e32 v28, 0x34f2, v31
	v_add_f16_e32 v31, v18, v33
	v_fmac_f16_e32 v4, 0xbb9c, v27
	v_add_f16_e32 v27, v25, v24
	v_fmac_f16_e32 v42, 0x34f2, v63
	v_fmac_f16_e32 v15, 0x34f2, v63
	v_fmamk_f16 v33, v58, 0x3b9c, v32
	v_sub_f16_e32 v59, v22, v21
	v_sub_f16_e32 v63, v24, v18
	;; [unrolled: 1-line block ×3, first 2 shown]
	v_add_f16_e32 v31, v19, v31
	v_fmac_f16_e32 v32, 0xbb9c, v58
	v_fmac_f16_e32 v17, -0.5, v27
	v_fmac_f16_e32 v34, 0xb8b4, v29
	v_fmac_f16_e32 v33, 0x38b4, v59
	v_add_f16_e32 v63, v67, v63
	v_fmac_f16_e32 v4, 0x38b4, v29
	v_add_f16_e32 v27, v25, v31
	v_fmac_f16_e32 v32, 0xb8b4, v59
	v_fmamk_f16 v29, v59, 0xbb9c, v17
	v_sub_f16_e32 v31, v18, v24
	v_sub_f16_e32 v67, v19, v25
	v_fmac_f16_e32 v17, 0x3b9c, v59
	v_add_f16_e32 v59, v23, v3
	v_add_f16_e32 v68, v21, v22
	v_fmac_f16_e32 v29, 0x38b4, v58
	v_add_f16_e32 v31, v67, v31
	v_fmac_f16_e32 v17, 0xb8b4, v58
	v_add_f16_e32 v58, v22, v59
	v_fma_f16 v59, -0.5, v68, v3
	v_sub_f16_e32 v24, v24, v25
	v_fmac_f16_e32 v33, 0x34f2, v63
	v_fmac_f16_e32 v32, 0x34f2, v63
	;; [unrolled: 1-line block ×4, first 2 shown]
	v_add_f16_e32 v25, v21, v58
	v_fmamk_f16 v31, v24, 0xbb9c, v59
	v_add_f16_e32 v58, v20, v23
	v_sub_f16_e32 v18, v18, v19
	v_sub_f16_e32 v19, v23, v22
	;; [unrolled: 1-line block ×3, first 2 shown]
	v_fmac_f16_e32 v59, 0x3b9c, v24
	v_sub_f16_e32 v22, v22, v23
	v_sub_f16_e32 v21, v21, v20
	v_fmac_f16_e32 v3, -0.5, v58
	v_fmac_f16_e32 v31, 0xb8b4, v18
	v_add_f16_e32 v19, v63, v19
	v_fmac_f16_e32 v59, 0x38b4, v18
	v_add_f16_e32 v21, v21, v22
	v_fmamk_f16 v23, v18, 0x3b9c, v3
	v_fmac_f16_e32 v3, 0xbb9c, v18
	v_fmac_f16_e32 v31, 0x34f2, v19
	;; [unrolled: 1-line block ×3, first 2 shown]
	v_mad_u32_u24 v63, v14, 10, 0
	v_pack_b32_f16 v19, v61, v13
	v_pack_b32_f16 v18, v64, v62
	v_add_f16_e32 v25, v20, v25
	v_mul_f16_e32 v58, 0x34f2, v21
	v_pack_b32_f16 v21, v60, v6
	v_pack_b32_f16 v20, v54, v57
	;; [unrolled: 1-line block ×4, first 2 shown]
	s_load_b64 s[2:3], s[2:3], 0x0
	ds_store_b64 v63, v[18:19]
	ds_store_b16 v63, v37 offset:8
	ds_store_b64 v63, v[20:21] offset:1250
	ds_store_b16 v63, v56 offset:1258
	v_pack_b32_f16 v19, v42, v15
	v_pack_b32_f16 v18, v40, v46
	;; [unrolled: 1-line block ×4, first 2 shown]
	ds_store_b64 v63, v[12:13] offset:2500
	ds_store_b16 v63, v51 offset:2508
	ds_store_b64 v63, v[18:19] offset:3750
	ds_store_b16 v63, v45 offset:3758
	;; [unrolled: 2-line block ×3, first 2 shown]
	v_pack_b32_f16 v20, v38, v5
	v_and_b32_e32 v5, 0xff, v14
	v_lshlrev_b32_e32 v15, 3, v14
	v_mul_f16_e32 v50, 0x34f2, v50
	v_pack_b32_f16 v16, v53, v16
	v_pk_add_f16 v22, v26, v20 op_sel_hi:[0,1]
	v_mul_lo_u16 v20, 0xcd, v5
	v_sub_nc_u32_e32 v15, v63, v15
	v_pack_b32_f16 v21, v2, v1
	v_pk_add_f16 v2, v50, v16 op_sel_hi:[0,1]
	v_pack_b32_f16 v1, v39, v36
	v_lshrrev_b16 v20, 10, v20
	v_fmac_f16_e32 v23, 0xb8b4, v24
	v_fmac_f16_e32 v3, 0x38b4, v24
	v_pack_b32_f16 v7, v47, v7
	v_add_nc_u32_e32 v6, 0x7d, v14
	global_wb scope:SCOPE_SE
	s_wait_dscnt 0x0
	s_wait_kmcnt 0x0
	s_barrier_signal -1
	s_barrier_wait -1
	global_inv scope:SCOPE_SE
	ds_load_u16 v60, v15 offset:1750
	ds_load_u16 v19, v15
	ds_load_u16 v18, v15 offset:250
	ds_load_u16 v13, v15 offset:500
	;; [unrolled: 1-line block ×23, first 2 shown]
	global_wb scope:SCOPE_SE
	s_wait_dscnt 0x0
	s_barrier_signal -1
	s_barrier_wait -1
	global_inv scope:SCOPE_SE
	ds_store_b64 v63, v[21:22]
	ds_store_b16 v63, v0 offset:8
	ds_store_b64 v63, v[1:2] offset:1250
	ds_store_b16 v63, v35 offset:1258
	v_pack_b32_f16 v2, v34, v4
	v_mul_lo_u16 v4, v20, 5
	v_pk_add_f16 v1, v41, v7 op_sel_hi:[0,1]
	v_pack_b32_f16 v7, v23, v3
	v_pack_b32_f16 v0, v43, v52
	v_pk_add_f16 v3, v28, v2 op_sel_hi:[0,1]
	v_sub_nc_u16 v16, v14, v4
	v_and_b32_e32 v4, 0xff, v6
	v_pack_b32_f16 v2, v30, v44
	v_pk_add_f16 v22, v58, v7 op_sel_hi:[0,1]
	v_pack_b32_f16 v21, v25, v31
	ds_store_b64 v63, v[0:1] offset:2500
	ds_store_b16 v63, v65 offset:2508
	ds_store_b64 v63, v[2:3] offset:3750
	ds_store_b16 v63, v66 offset:3758
	;; [unrolled: 2-line block ×3, first 2 shown]
	v_mul_lo_u16 v0, 0xcd, v4
	v_add_nc_u32_e32 v7, 0xfa, v14
	v_and_b32_e32 v25, 0xff, v16
	global_wb scope:SCOPE_SE
	s_wait_dscnt 0x0
	s_barrier_signal -1
	v_lshrrev_b16 v26, 10, v0
	v_and_b32_e32 v3, 0xffff, v7
	v_lshlrev_b32_e32 v1, 4, v25
	s_barrier_wait -1
	global_inv scope:SCOPE_SE
	v_mul_lo_u16 v0, v26, 5
	v_add_nc_u32_e32 v16, 0x177, v14
	global_load_b128 v[38:41], v1, s[8:9]
	v_and_b32_e32 v20, 0xffff, v20
	v_and_b32_e32 v26, 0xffff, v26
	v_sub_nc_u16 v0, v6, v0
	v_lshlrev_b32_e32 v25, 1, v25
	v_mul_lo_u16 v5, v5, 41
	v_mul_u32_u24_e32 v20, 50, v20
	v_mul_u32_u24_e32 v26, 50, v26
	v_and_b32_e32 v29, 0xff, v0
	v_mul_u32_u24_e32 v0, 0xcccd, v3
	v_lshrrev_b16 v5, 10, v5
	v_add3_u32 v20, 0, v20, v25
	v_mul_lo_u16 v4, v4, 41
	s_delay_alu instid0(VALU_DEP_4) | instskip(NEXT) | instid1(VALU_DEP_1)
	v_lshrrev_b32_e32 v28, 18, v0
	v_mul_lo_u16 v0, v28, 5
	s_delay_alu instid0(VALU_DEP_1) | instskip(NEXT) | instid1(VALU_DEP_1)
	v_sub_nc_u16 v0, v7, v0
	v_and_b32_e32 v31, 0xffff, v0
	s_delay_alu instid0(VALU_DEP_1)
	v_lshlrev_b32_e32 v2, 4, v31
	global_load_b128 v[46:49], v2, s[8:9]
	v_lshlrev_b32_e32 v1, 4, v29
	v_lshlrev_b32_e32 v29, 1, v29
	global_load_b128 v[42:45], v1, s[8:9]
	v_and_b32_e32 v1, 0xffff, v16
	v_add3_u32 v25, 0, v26, v29
	v_mul_u32_u24_e32 v26, 50, v28
	v_lshlrev_b32_e32 v28, 1, v31
	s_delay_alu instid0(VALU_DEP_4) | instskip(NEXT) | instid1(VALU_DEP_2)
	v_mul_u32_u24_e32 v0, 0xcccd, v1
	v_add3_u32 v26, 0, v26, v28
	s_delay_alu instid0(VALU_DEP_2) | instskip(SKIP_1) | instid1(VALU_DEP_2)
	v_lshrrev_b32_e32 v30, 18, v0
	v_add_nc_u32_e32 v0, 0x1f4, v14
	v_mul_lo_u16 v2, v30, 5
	s_delay_alu instid0(VALU_DEP_1) | instskip(NEXT) | instid1(VALU_DEP_3)
	v_sub_nc_u16 v21, v16, v2
	v_and_b32_e32 v2, 0xffff, v0
	s_delay_alu instid0(VALU_DEP_2) | instskip(NEXT) | instid1(VALU_DEP_2)
	v_and_b32_e32 v34, 0xffff, v21
	v_mul_u32_u24_e32 v21, 0xcccd, v2
	s_delay_alu instid0(VALU_DEP_2) | instskip(NEXT) | instid1(VALU_DEP_2)
	v_lshlrev_b32_e32 v22, 4, v34
	v_lshrrev_b32_e32 v32, 18, v21
	v_lshlrev_b32_e32 v28, 1, v34
	global_load_b128 v[50:53], v22, s[8:9]
	v_mul_lo_u16 v21, v32, 5
	s_delay_alu instid0(VALU_DEP_1) | instskip(NEXT) | instid1(VALU_DEP_1)
	v_sub_nc_u16 v21, v0, v21
	v_and_b32_e32 v33, 0xffff, v21
	s_delay_alu instid0(VALU_DEP_1)
	v_lshlrev_b32_e32 v21, 4, v33
	global_load_b128 v[54:57], v21, s[8:9]
	ds_load_u16 v35, v15 offset:1250
	ds_load_u16 v36, v15 offset:2500
	;; [unrolled: 1-line block ×5, first 2 shown]
	ds_load_u16 v24, v15
	ds_load_u16 v23, v15 offset:250
	ds_load_u16 v22, v15 offset:500
	;; [unrolled: 1-line block ×11, first 2 shown]
	s_wait_loadcnt 0x4
	v_lshrrev_b32_e32 v65, 16, v38
	v_lshrrev_b32_e32 v83, 16, v39
	;; [unrolled: 1-line block ×3, first 2 shown]
	s_wait_dscnt 0x10
	s_delay_alu instid0(VALU_DEP_3)
	v_mul_f16_e32 v84, v35, v65
	v_mul_f16_e32 v65, v73, v65
	s_wait_dscnt 0xf
	v_mul_f16_e32 v91, v36, v83
	v_mul_f16_e32 v83, v77, v83
	v_fma_f16 v73, v73, v38, -v84
	v_fmac_f16_e32 v65, v35, v38
	s_delay_alu instid0(VALU_DEP_4)
	v_fma_f16 v38, v77, v39, -v91
	s_wait_dscnt 0xe
	v_mul_f16_e32 v35, v58, v85
	v_mul_f16_e32 v77, v74, v85
	v_fmac_f16_e32 v83, v36, v39
	ds_load_u16 v36, v15 offset:5250
	ds_load_u16 v39, v15 offset:5500
	;; [unrolled: 1-line block ×7, first 2 shown]
	v_lshrrev_b32_e32 v84, 16, v41
	v_fma_f16 v74, v74, v40, -v35
	v_fmac_f16_e32 v77, v58, v40
	s_wait_dscnt 0xe
	s_delay_alu instid0(VALU_DEP_3) | instskip(SKIP_1) | instid1(VALU_DEP_2)
	v_mul_f16_e32 v95, v66, v84
	v_mul_f16_e32 v84, v80, v84
	v_fma_f16 v58, v80, v41, -v95
	s_delay_alu instid0(VALU_DEP_2)
	v_fmac_f16_e32 v84, v66, v41
	s_wait_loadcnt 0x2
	v_lshrrev_b32_e32 v96, 16, v42
	v_lshrrev_b32_e32 v40, 16, v43
	;; [unrolled: 1-line block ×4, first 2 shown]
	s_delay_alu instid0(VALU_DEP_4) | instskip(SKIP_2) | instid1(VALU_DEP_3)
	v_mul_f16_e32 v35, v59, v96
	v_mul_f16_e32 v66, v72, v96
	v_mul_f16_e32 v95, v76, v40
	v_fma_f16 v72, v72, v42, -v35
	s_wait_dscnt 0xb
	v_mul_f16_e32 v35, v86, v40
	s_wait_dscnt 0x3
	v_mul_f16_e32 v40, v91, v41
	v_fmac_f16_e32 v66, v59, v42
	v_fmac_f16_e32 v95, v86, v43
	v_fma_f16 v59, v76, v43, -v35
	v_mul_f16_e32 v76, v67, v41
	v_mul_f16_e32 v35, v36, v80
	v_fma_f16 v67, v67, v44, -v40
	v_lshrrev_b32_e32 v40, 16, v46
	v_mul_f16_e32 v80, v79, v80
	v_fmac_f16_e32 v76, v91, v44
	v_fma_f16 v43, v79, v45, -v35
	v_lshrrev_b32_e32 v35, 16, v47
	v_mul_f16_e32 v41, v63, v40
	v_fmac_f16_e32 v80, v36, v45
	v_lshrrev_b32_e32 v36, 16, v48
	v_mul_f16_e32 v79, v60, v40
	v_mul_f16_e32 v86, v62, v35
	v_fma_f16 v60, v60, v46, -v41
	v_lshrrev_b32_e32 v41, 16, v49
	v_mul_f16_e32 v40, v87, v35
	s_wait_dscnt 0x2
	v_mul_f16_e32 v35, v92, v36
	v_fmac_f16_e32 v86, v87, v47
	v_fmac_f16_e32 v79, v63, v46
	v_mul_f16_e32 v87, v70, v41
	v_mul_f16_e32 v63, v68, v36
	;; [unrolled: 1-line block ×3, first 2 shown]
	v_fma_f16 v68, v68, v48, -v35
	s_wait_loadcnt 0x1
	v_lshrrev_b32_e32 v35, 16, v50
	v_fmac_f16_e32 v87, v39, v49
	v_lshrrev_b32_e32 v39, 16, v51
	v_lshrrev_b32_e32 v41, 16, v52
	v_fma_f16 v62, v62, v47, -v40
	v_fmac_f16_e32 v63, v92, v48
	v_mul_f16_e32 v40, v82, v35
	v_mul_f16_e32 v91, v61, v35
	v_lshrrev_b32_e32 v35, 16, v53
	v_mul_f16_e32 v42, v88, v39
	v_mul_f16_e32 v92, v64, v39
	s_wait_dscnt 0x1
	v_mul_f16_e32 v39, v93, v41
	v_fma_f16 v70, v70, v49, -v36
	ds_load_u16 v36, v15 offset:6000
	v_fma_f16 v61, v61, v50, -v40
	v_fmac_f16_e32 v91, v82, v50
	v_mul_f16_e32 v82, v69, v41
	v_fmac_f16_e32 v92, v88, v51
	v_mul_f16_e32 v40, v85, v35
	v_fma_f16 v69, v69, v52, -v39
	v_mul_f16_e32 v88, v71, v35
	s_wait_loadcnt 0x0
	v_lshrrev_b32_e32 v35, 16, v54
	v_lshrrev_b32_e32 v39, 16, v55
	v_fma_f16 v64, v64, v51, -v42
	v_fma_f16 v71, v71, v53, -v40
	v_lshrrev_b32_e32 v40, 16, v56
	v_mul_f16_e32 v41, v90, v35
	v_mul_f16_e32 v42, v78, v35
	;; [unrolled: 1-line block ×4, first 2 shown]
	v_add_f16_e32 v46, v19, v73
	v_lshrrev_b32_e32 v45, 16, v57
	v_fma_f16 v51, v78, v54, -v41
	v_fma_f16 v47, v75, v55, -v35
	v_add_f16_e32 v35, v38, v74
	v_fmac_f16_e32 v44, v89, v55
	s_wait_dscnt 0x1
	v_mul_f16_e32 v41, v94, v40
	v_add_f16_e32 v55, v73, v58
	v_fmac_f16_e32 v82, v93, v52
	v_fma_f16 v39, -0.5, v35, v19
	v_add_f16_e32 v35, v46, v38
	v_fmac_f16_e32 v88, v85, v53
	v_mul_f16_e32 v50, v81, v40
	s_wait_dscnt 0x0
	v_mul_f16_e32 v40, v36, v45
	v_sub_f16_e32 v48, v65, v84
	v_fma_f16 v52, v81, v56, -v41
	v_sub_f16_e32 v41, v83, v77
	v_sub_f16_e32 v46, v73, v38
	;; [unrolled: 1-line block ×3, first 2 shown]
	v_mul_f16_e32 v53, v37, v45
	v_add_f16_e32 v35, v35, v74
	v_fmac_f16_e32 v19, -0.5, v55
	v_fmac_f16_e32 v42, v90, v54
	v_fma_f16 v54, v37, v57, -v40
	v_fmamk_f16 v40, v48, 0x3b9c, v39
	v_add_f16_e32 v37, v46, v49
	v_fmac_f16_e32 v53, v36, v57
	v_add_f16_e32 v45, v35, v58
	v_fmac_f16_e32 v39, 0xbb9c, v48
	v_fmamk_f16 v46, v41, 0xbb9c, v19
	v_sub_f16_e32 v35, v38, v73
	v_sub_f16_e32 v36, v74, v58
	v_add_f16_e32 v49, v24, v65
	v_add_f16_e32 v55, v83, v77
	v_fmac_f16_e32 v19, 0x3b9c, v41
	v_fmac_f16_e32 v50, v94, v56
	;; [unrolled: 1-line block ×5, first 2 shown]
	v_add_f16_e32 v56, v35, v36
	v_add_f16_e32 v36, v49, v83
	v_fma_f16 v35, -0.5, v55, v24
	v_sub_f16_e32 v41, v73, v58
	v_fmac_f16_e32 v19, 0xb8b4, v48
	v_add_f16_e32 v48, v65, v84
	v_sub_f16_e32 v49, v38, v74
	v_sub_f16_e32 v38, v65, v83
	;; [unrolled: 1-line block ×3, first 2 shown]
	v_fmac_f16_e32 v40, 0x34f2, v37
	v_fmac_f16_e32 v39, 0x34f2, v37
	;; [unrolled: 1-line block ×3, first 2 shown]
	v_add_f16_e32 v37, v36, v77
	v_fmamk_f16 v36, v41, 0xbb9c, v35
	v_fmac_f16_e32 v19, 0x34f2, v56
	v_fmac_f16_e32 v24, -0.5, v48
	v_add_f16_e32 v48, v38, v55
	v_fmac_f16_e32 v35, 0x3b9c, v41
	v_sub_f16_e32 v55, v83, v65
	v_sub_f16_e32 v56, v77, v84
	v_fmac_f16_e32 v36, 0xb8b4, v49
	v_add_f16_e32 v57, v59, v67
	v_fmac_f16_e32 v35, 0x38b4, v49
	v_fmamk_f16 v38, v49, 0x3b9c, v24
	v_add_f16_e32 v55, v55, v56
	v_add_f16_e32 v56, v18, v72
	v_fmac_f16_e32 v36, 0x34f2, v48
	v_fma_f16 v57, -0.5, v57, v18
	v_sub_f16_e32 v58, v66, v80
	v_fmac_f16_e32 v35, 0x34f2, v48
	v_fmac_f16_e32 v24, 0xbb9c, v49
	v_add_f16_e32 v48, v56, v59
	v_add_f16_e32 v74, v72, v43
	v_fmac_f16_e32 v38, 0xb8b4, v41
	v_fmamk_f16 v56, v58, 0x3b9c, v57
	v_sub_f16_e32 v49, v95, v76
	v_sub_f16_e32 v65, v72, v59
	;; [unrolled: 1-line block ×3, first 2 shown]
	v_fmac_f16_e32 v24, 0x38b4, v41
	v_add_f16_e32 v41, v48, v67
	v_fmac_f16_e32 v18, -0.5, v74
	v_fmac_f16_e32 v57, 0xbb9c, v58
	v_add_f16_e32 v74, v23, v66
	v_fmac_f16_e32 v38, 0x34f2, v55
	v_fmac_f16_e32 v56, 0x38b4, v49
	v_add_f16_e32 v48, v65, v73
	v_fmac_f16_e32 v24, 0x34f2, v55
	v_add_f16_e32 v55, v41, v43
	v_fmamk_f16 v65, v49, 0xbb9c, v18
	v_sub_f16_e32 v41, v59, v72
	v_sub_f16_e32 v73, v67, v43
	v_fmac_f16_e32 v57, 0xb8b4, v49
	v_add_f16_e32 v75, v95, v76
	v_fmac_f16_e32 v18, 0x3b9c, v49
	v_add_f16_e32 v49, v74, v95
	v_fmac_f16_e32 v56, 0x34f2, v48
	v_fmac_f16_e32 v65, 0x38b4, v58
	v_add_f16_e32 v73, v41, v73
	v_fma_f16 v41, -0.5, v75, v23
	v_sub_f16_e32 v72, v72, v43
	v_fmac_f16_e32 v57, 0x34f2, v48
	v_fmac_f16_e32 v18, 0xb8b4, v58
	v_add_f16_e32 v48, v49, v76
	v_add_f16_e32 v49, v66, v80
	v_sub_f16_e32 v58, v59, v67
	v_sub_f16_e32 v59, v66, v95
	;; [unrolled: 1-line block ×3, first 2 shown]
	v_fmac_f16_e32 v65, 0x34f2, v73
	v_fmamk_f16 v43, v72, 0xbb9c, v41
	v_fmac_f16_e32 v18, 0x34f2, v73
	v_fmac_f16_e32 v23, -0.5, v49
	v_add_f16_e32 v59, v59, v67
	v_fmac_f16_e32 v41, 0x3b9c, v72
	v_sub_f16_e32 v66, v95, v66
	v_sub_f16_e32 v67, v76, v80
	v_add_f16_e32 v73, v62, v68
	v_fmac_f16_e32 v43, 0xb8b4, v58
	v_fmamk_f16 v49, v58, 0x3b9c, v23
	v_fmac_f16_e32 v41, 0x38b4, v58
	v_add_f16_e32 v66, v66, v67
	v_add_f16_e32 v67, v13, v60
	v_fma_f16 v73, -0.5, v73, v13
	v_sub_f16_e32 v74, v79, v87
	v_fmac_f16_e32 v23, 0xbb9c, v58
	v_add_f16_e32 v77, v60, v70
	v_fmac_f16_e32 v43, 0x34f2, v59
	v_fmac_f16_e32 v49, 0xb8b4, v72
	;; [unrolled: 1-line block ×3, first 2 shown]
	v_add_f16_e32 v58, v67, v62
	v_fmamk_f16 v59, v74, 0x3b9c, v73
	v_sub_f16_e32 v67, v86, v63
	v_sub_f16_e32 v75, v60, v62
	;; [unrolled: 1-line block ×3, first 2 shown]
	v_fmac_f16_e32 v23, 0x38b4, v72
	v_fmac_f16_e32 v13, -0.5, v77
	v_fmac_f16_e32 v73, 0xbb9c, v74
	v_fmac_f16_e32 v49, 0x34f2, v66
	v_fmac_f16_e32 v59, 0x38b4, v67
	v_add_f16_e32 v72, v75, v76
	v_fmac_f16_e32 v23, 0x34f2, v66
	v_fmamk_f16 v66, v67, 0xbb9c, v13
	v_sub_f16_e32 v75, v62, v60
	v_sub_f16_e32 v76, v68, v70
	v_fmac_f16_e32 v73, 0xb8b4, v67
	v_add_f16_e32 v77, v22, v79
	v_add_f16_e32 v78, v86, v63
	v_fmac_f16_e32 v13, 0x3b9c, v67
	v_add_f16_e32 v58, v58, v68
	v_fmac_f16_e32 v59, 0x34f2, v72
	v_fmac_f16_e32 v66, 0x38b4, v74
	v_add_f16_e32 v75, v75, v76
	v_add_f16_e32 v67, v77, v86
	v_fma_f16 v76, -0.5, v78, v22
	v_sub_f16_e32 v60, v60, v70
	v_fmac_f16_e32 v73, 0x34f2, v72
	v_fmac_f16_e32 v13, 0xb8b4, v74
	v_add_f16_e32 v72, v79, v87
	v_sub_f16_e32 v62, v62, v68
	v_sub_f16_e32 v68, v79, v86
	;; [unrolled: 1-line block ×3, first 2 shown]
	v_add_f16_e32 v58, v58, v70
	v_fmac_f16_e32 v66, 0x34f2, v75
	v_add_f16_e32 v67, v67, v63
	v_fmamk_f16 v70, v60, 0xbb9c, v76
	v_fmac_f16_e32 v13, 0x34f2, v75
	v_fmac_f16_e32 v22, -0.5, v72
	v_add_f16_e32 v68, v68, v74
	v_fmac_f16_e32 v76, 0x3b9c, v60
	v_sub_f16_e32 v74, v86, v79
	v_sub_f16_e32 v63, v63, v87
	v_add_f16_e32 v75, v64, v69
	v_add_f16_e32 v48, v48, v80
	v_fmac_f16_e32 v70, 0xb8b4, v62
	v_fmamk_f16 v72, v62, 0x3b9c, v22
	v_fmac_f16_e32 v76, 0x38b4, v62
	v_add_f16_e32 v63, v74, v63
	v_add_f16_e32 v74, v12, v61
	v_fma_f16 v75, -0.5, v75, v12
	v_sub_f16_e32 v77, v91, v88
	v_fmac_f16_e32 v22, 0xbb9c, v62
	v_add_f16_e32 v80, v61, v71
	v_fmac_f16_e32 v70, 0x34f2, v68
	v_fmac_f16_e32 v72, 0xb8b4, v60
	;; [unrolled: 1-line block ×3, first 2 shown]
	v_add_f16_e32 v62, v74, v64
	v_fmamk_f16 v68, v77, 0x3b9c, v75
	v_sub_f16_e32 v74, v92, v82
	v_sub_f16_e32 v78, v61, v64
	;; [unrolled: 1-line block ×3, first 2 shown]
	v_fmac_f16_e32 v22, 0x38b4, v60
	v_fmac_f16_e32 v12, -0.5, v80
	v_fmac_f16_e32 v75, 0xbb9c, v77
	v_add_f16_e32 v80, v21, v91
	v_fmac_f16_e32 v72, 0x34f2, v63
	v_add_f16_e32 v60, v62, v69
	;; [unrolled: 2-line block ×3, first 2 shown]
	v_fmac_f16_e32 v22, 0x34f2, v63
	v_fmamk_f16 v63, v74, 0xbb9c, v12
	v_sub_f16_e32 v78, v64, v61
	v_sub_f16_e32 v79, v69, v71
	v_fmac_f16_e32 v75, 0xb8b4, v74
	v_add_f16_e32 v81, v92, v82
	v_fmac_f16_e32 v12, 0x3b9c, v74
	v_add_f16_e32 v74, v80, v92
	v_fmac_f16_e32 v68, 0x34f2, v62
	v_fmac_f16_e32 v63, 0x38b4, v77
	v_add_f16_e32 v78, v78, v79
	v_fma_f16 v79, -0.5, v81, v21
	v_sub_f16_e32 v61, v61, v71
	v_fmac_f16_e32 v75, 0x34f2, v62
	v_fmac_f16_e32 v12, 0xb8b4, v77
	v_add_f16_e32 v62, v74, v82
	v_add_f16_e32 v74, v91, v88
	v_sub_f16_e32 v64, v64, v69
	v_sub_f16_e32 v69, v91, v92
	;; [unrolled: 1-line block ×3, first 2 shown]
	v_add_f16_e32 v60, v60, v71
	v_fmac_f16_e32 v63, 0x34f2, v78
	v_fmamk_f16 v71, v61, 0xbb9c, v79
	v_fmac_f16_e32 v12, 0x34f2, v78
	v_fmac_f16_e32 v21, -0.5, v74
	v_add_f16_e32 v69, v69, v77
	v_fmac_f16_e32 v79, 0x3b9c, v61
	v_sub_f16_e32 v77, v92, v91
	v_sub_f16_e32 v78, v82, v88
	v_add_f16_e32 v80, v47, v52
	v_fmac_f16_e32 v71, 0xb8b4, v64
	v_fmamk_f16 v74, v64, 0x3b9c, v21
	v_fmac_f16_e32 v79, 0x38b4, v64
	v_add_f16_e32 v77, v77, v78
	v_fmac_f16_e32 v21, 0xbb9c, v64
	v_add_f16_e32 v64, v17, v51
	v_fma_f16 v78, -0.5, v80, v17
	v_sub_f16_e32 v80, v42, v53
	v_fmac_f16_e32 v71, 0x34f2, v69
	v_fmac_f16_e32 v74, 0xb8b4, v61
	;; [unrolled: 1-line block ×4, first 2 shown]
	v_add_f16_e32 v61, v64, v47
	v_fmamk_f16 v64, v80, 0x3b9c, v78
	v_sub_f16_e32 v69, v44, v50
	v_sub_f16_e32 v81, v51, v47
	v_sub_f16_e32 v82, v54, v52
	v_fmac_f16_e32 v78, 0xbb9c, v80
	v_add_f16_e32 v83, v51, v54
	v_fmac_f16_e32 v64, 0x38b4, v69
	v_add_f16_e32 v37, v37, v84
	v_add_f16_e32 v81, v81, v82
	v_fmac_f16_e32 v78, 0xb8b4, v69
	v_fmac_f16_e32 v17, -0.5, v83
	v_fmac_f16_e32 v74, 0x34f2, v77
	v_add_f16_e32 v61, v61, v52
	v_fmac_f16_e32 v64, 0x34f2, v81
	v_fmac_f16_e32 v78, 0x34f2, v81
	v_add_f16_e32 v81, v27, v42
	v_fmac_f16_e32 v21, 0x34f2, v77
	v_fmamk_f16 v77, v69, 0xbb9c, v17
	v_sub_f16_e32 v83, v47, v51
	v_sub_f16_e32 v84, v52, v54
	v_fmac_f16_e32 v17, 0x3b9c, v69
	v_add_f16_e32 v69, v81, v44
	v_add_f16_e32 v61, v61, v54
	v_sub_f16_e32 v51, v51, v54
	v_fmac_f16_e32 v77, 0x38b4, v80
	v_add_f16_e32 v54, v83, v84
	v_fmac_f16_e32 v17, 0xb8b4, v80
	v_add_f16_e32 v69, v69, v50
	global_wb scope:SCOPE_SE
	s_barrier_signal -1
	s_barrier_wait -1
	global_inv scope:SCOPE_SE
	ds_store_b16 v20, v45
	ds_store_b16 v20, v40 offset:10
	ds_store_b16 v20, v46 offset:20
	;; [unrolled: 1-line block ×4, first 2 shown]
	v_mul_u32_u24_e32 v19, 50, v30
	v_add_f16_e32 v82, v44, v50
	v_sub_f16_e32 v47, v47, v52
	v_fmac_f16_e32 v77, 0x34f2, v54
	v_fmac_f16_e32 v17, 0x34f2, v54
	v_add_f16_e32 v52, v69, v53
	v_sub_f16_e32 v54, v42, v44
	v_sub_f16_e32 v69, v53, v50
	ds_store_b16 v25, v55
	ds_store_b16 v25, v56 offset:10
	ds_store_b16 v25, v65 offset:20
	;; [unrolled: 1-line block ×4, first 2 shown]
	v_add3_u32 v28, 0, v19, v28
	v_mul_u32_u24_e32 v18, 50, v32
	v_lshlrev_b32_e32 v19, 1, v33
	v_fma_f16 v81, -0.5, v82, v27
	v_add_f16_e32 v82, v42, v53
	v_sub_f16_e32 v42, v44, v42
	v_sub_f16_e32 v44, v50, v53
	v_add_f16_e32 v50, v54, v69
	ds_store_b16 v26, v58
	ds_store_b16 v26, v59 offset:10
	ds_store_b16 v26, v66 offset:20
	;; [unrolled: 1-line block ×4, first 2 shown]
	v_add3_u32 v29, 0, v18, v19
	ds_store_b16 v28, v60
	ds_store_b16 v28, v68 offset:10
	ds_store_b16 v28, v63 offset:20
	;; [unrolled: 1-line block ×4, first 2 shown]
	ds_store_b16 v29, v61
	ds_store_b16 v29, v64 offset:10
	ds_store_b16 v29, v77 offset:20
	;; [unrolled: 1-line block ×4, first 2 shown]
	global_wb scope:SCOPE_SE
	s_wait_dscnt 0x0
	s_barrier_signal -1
	s_barrier_wait -1
	global_inv scope:SCOPE_SE
	ds_load_u16 v54, v15 offset:1750
	ds_load_u16 v19, v15
	ds_load_u16 v18, v15 offset:250
	ds_load_u16 v13, v15 offset:500
	;; [unrolled: 1-line block ×23, first 2 shown]
	global_wb scope:SCOPE_SE
	s_wait_dscnt 0x0
	s_barrier_signal -1
	s_barrier_wait -1
	global_inv scope:SCOPE_SE
	ds_store_b16 v20, v37
	ds_store_b16 v20, v36 offset:10
	ds_store_b16 v20, v38 offset:20
	;; [unrolled: 1-line block ×4, first 2 shown]
	v_mul_lo_u16 v20, v5, 25
	v_fmac_f16_e32 v27, -0.5, v82
	v_fmamk_f16 v80, v51, 0xbb9c, v81
	v_fmac_f16_e32 v81, 0x3b9c, v51
	v_add_f16_e32 v67, v67, v87
	v_sub_nc_u16 v20, v14, v20
	v_fmamk_f16 v82, v47, 0x3b9c, v27
	v_fmac_f16_e32 v27, 0xbb9c, v47
	v_add_f16_e32 v62, v62, v88
	v_fmac_f16_e32 v80, 0xb8b4, v47
	v_and_b32_e32 v20, 0xff, v20
	v_fmac_f16_e32 v82, 0xb8b4, v51
	v_add_f16_e32 v42, v42, v44
	v_fmac_f16_e32 v27, 0x38b4, v51
	v_fmac_f16_e32 v81, 0x38b4, v47
	ds_store_b16 v25, v48
	ds_store_b16 v25, v43 offset:10
	ds_store_b16 v25, v49 offset:20
	ds_store_b16 v25, v23 offset:30
	ds_store_b16 v25, v41 offset:40
	ds_store_b16 v26, v67
	ds_store_b16 v26, v70 offset:10
	ds_store_b16 v26, v72 offset:20
	ds_store_b16 v26, v22 offset:30
	ds_store_b16 v26, v76 offset:40
	;; [unrolled: 5-line block ×3, first 2 shown]
	v_lshlrev_b32_e32 v21, 4, v20
	v_mul_u32_u24_e32 v22, 0x47af, v3
	v_fmac_f16_e32 v80, 0x34f2, v50
	v_fmac_f16_e32 v82, 0x34f2, v42
	;; [unrolled: 1-line block ×4, first 2 shown]
	ds_store_b16 v29, v52
	ds_store_b16 v29, v80 offset:10
	ds_store_b16 v29, v82 offset:20
	ds_store_b16 v29, v27 offset:30
	ds_store_b16 v29, v81 offset:40
	global_wb scope:SCOPE_SE
	s_wait_dscnt 0x0
	s_barrier_signal -1
	s_barrier_wait -1
	global_inv scope:SCOPE_SE
	global_load_b128 v[34:37], v21, s[8:9] offset:80
	v_lshrrev_b16 v21, 10, v4
	v_lshrrev_b32_e32 v4, 16, v22
	v_and_b32_e32 v5, 0xffff, v5
	v_lshlrev_b32_e32 v20, 1, v20
	v_mul_u32_u24_e32 v3, 0x625, v3
	v_mul_lo_u16 v22, v21, 25
	v_sub_nc_u16 v23, v7, v4
	v_mul_u32_u24_e32 v5, 0xfa, v5
	v_and_b32_e32 v21, 0xffff, v21
	v_lshrrev_b32_e32 v3, 16, v3
	v_sub_nc_u16 v22, v6, v22
	v_lshrrev_b16 v23, 1, v23
	v_add3_u32 v5, 0, v5, v20
	v_mul_u32_u24_e32 v20, 0xfa, v21
	s_delay_alu instid0(VALU_DEP_4) | instskip(NEXT) | instid1(VALU_DEP_4)
	v_and_b32_e32 v26, 0xff, v22
	v_add_nc_u16 v4, v23, v4
	v_mul_u32_u24_e32 v22, 0x47af, v1
	v_mul_u32_u24_e32 v1, 0x625, v1
	s_delay_alu instid0(VALU_DEP_4) | instskip(NEXT) | instid1(VALU_DEP_4)
	v_lshlrev_b32_e32 v23, 4, v26
	v_lshrrev_b16 v27, 4, v4
	s_delay_alu instid0(VALU_DEP_4)
	v_lshrrev_b32_e32 v4, 16, v22
	v_lshlrev_b32_e32 v21, 1, v26
	v_lshrrev_b32_e32 v1, 16, v1
	global_load_b128 v[38:41], v23, s[8:9] offset:80
	v_mul_lo_u16 v22, v27, 25
	v_sub_nc_u16 v23, v16, v4
	v_and_b32_e32 v27, 0xffff, v27
	s_delay_alu instid0(VALU_DEP_3) | instskip(NEXT) | instid1(VALU_DEP_3)
	v_sub_nc_u16 v22, v7, v22
	v_lshrrev_b16 v23, 1, v23
	s_delay_alu instid0(VALU_DEP_3) | instskip(NEXT) | instid1(VALU_DEP_3)
	v_mul_u32_u24_e32 v26, 0xfa, v27
	v_and_b32_e32 v32, 0xffff, v22
	s_delay_alu instid0(VALU_DEP_3) | instskip(SKIP_2) | instid1(VALU_DEP_4)
	v_add_nc_u16 v4, v23, v4
	v_mul_u32_u24_e32 v22, 0x47af, v2
	v_mul_u32_u24_e32 v2, 0x625, v2
	v_lshlrev_b32_e32 v23, 4, v32
	s_delay_alu instid0(VALU_DEP_4) | instskip(NEXT) | instid1(VALU_DEP_4)
	v_lshrrev_b16 v30, 4, v4
	v_lshrrev_b32_e32 v4, 16, v22
	v_lshlrev_b32_e32 v27, 1, v32
	v_add3_u32 v32, 0, v20, v21
	global_load_b128 v[42:45], v23, s[8:9] offset:80
	v_mul_lo_u16 v22, v30, 25
	v_sub_nc_u16 v23, v0, v4
	v_and_b32_e32 v30, 0xffff, v30
	v_add3_u32 v26, 0, v26, v27
	v_lshrrev_b32_e32 v2, 16, v2
	v_sub_nc_u16 v22, v16, v22
	v_lshrrev_b16 v23, 1, v23
	s_delay_alu instid0(VALU_DEP_2) | instskip(NEXT) | instid1(VALU_DEP_2)
	v_and_b32_e32 v31, 0xffff, v22
	v_add_nc_u16 v4, v23, v4
	s_delay_alu instid0(VALU_DEP_2) | instskip(NEXT) | instid1(VALU_DEP_2)
	v_lshlrev_b32_e32 v22, 4, v31
	v_lshrrev_b16 v29, 4, v4
	v_lshlrev_b32_e32 v20, 1, v31
	global_load_b128 v[46:49], v22, s[8:9] offset:80
	v_mul_lo_u16 v4, v29, 25
	v_and_b32_e32 v21, 0xffff, v29
	s_delay_alu instid0(VALU_DEP_2) | instskip(NEXT) | instid1(VALU_DEP_1)
	v_sub_nc_u16 v4, v0, v4
	v_and_b32_e32 v28, 0xffff, v4
	s_delay_alu instid0(VALU_DEP_1)
	v_lshlrev_b32_e32 v4, 4, v28
	global_load_b128 v[50:53], v4, s[8:9] offset:80
	ds_load_u16 v62, v15 offset:1250
	ds_load_u16 v67, v15 offset:3750
	;; [unrolled: 1-line block ×5, first 2 shown]
	ds_load_u16 v25, v15
	ds_load_u16 v24, v15 offset:250
	ds_load_u16 v23, v15 offset:500
	;; [unrolled: 1-line block ×9, first 2 shown]
	s_wait_loadcnt 0x4
	v_lshrrev_b32_e32 v74, 16, v34
	v_lshrrev_b32_e32 v85, 16, v35
	;; [unrolled: 1-line block ×4, first 2 shown]
	s_wait_dscnt 0xe
	v_mul_f16_e32 v80, v62, v74
	v_mul_f16_e32 v74, v65, v74
	s_wait_dscnt 0xc
	v_mul_f16_e32 v88, v70, v85
	s_wait_dscnt 0x4
	v_mul_f16_e32 v93, v79, v89
	v_mul_f16_e32 v89, v78, v89
	v_fma_f16 v65, v65, v34, -v80
	ds_load_u16 v80, v15 offset:3500
	ds_load_u16 v87, v15 offset:2250
	v_fmac_f16_e32 v74, v62, v34
	v_mul_f16_e32 v62, v73, v85
	v_fma_f16 v73, v73, v35, -v88
	ds_load_u16 v85, v15 offset:4000
	ds_load_u16 v88, v15 offset:4250
	ds_load_u16 v90, v15 offset:4500
	v_mul_f16_e32 v34, v67, v86
	v_mul_f16_e32 v86, v66, v86
	v_fmac_f16_e32 v62, v70, v35
	ds_load_u16 v35, v15 offset:5250
	ds_load_u16 v70, v15 offset:5500
	;; [unrolled: 1-line block ×4, first 2 shown]
	v_fmac_f16_e32 v89, v79, v37
	v_fma_f16 v66, v66, v36, -v34
	v_fmac_f16_e32 v86, v67, v36
	v_fma_f16 v67, v78, v37, -v93
	s_wait_loadcnt 0x3
	v_lshrrev_b32_e32 v34, 16, v38
	v_lshrrev_b32_e32 v36, 16, v39
	;; [unrolled: 1-line block ×3, first 2 shown]
	s_delay_alu instid0(VALU_DEP_3)
	v_mul_f16_e32 v78, v71, v34
	v_mul_f16_e32 v79, v64, v34
	s_wait_dscnt 0xb
	v_mul_f16_e32 v34, v81, v36
	v_mul_f16_e32 v93, v69, v36
	s_wait_dscnt 0x6
	v_mul_f16_e32 v36, v85, v37
	v_fma_f16 v64, v64, v38, -v78
	v_lshrrev_b32_e32 v78, 16, v41
	v_fmac_f16_e32 v79, v71, v38
	v_fma_f16 v69, v69, v39, -v34
	v_mul_f16_e32 v71, v58, v37
	v_fma_f16 v58, v58, v40, -v36
	s_wait_dscnt 0x3
	v_mul_f16_e32 v34, v35, v78
	v_mul_f16_e32 v78, v77, v78
	v_fmac_f16_e32 v93, v81, v39
	v_fmac_f16_e32 v71, v85, v40
	s_wait_loadcnt 0x2
	v_lshrrev_b32_e32 v36, 16, v42
	v_fma_f16 v77, v77, v41, -v34
	v_lshrrev_b32_e32 v34, 16, v43
	v_fmac_f16_e32 v78, v35, v41
	ds_load_u16 v35, v15 offset:6000
	v_mul_f16_e32 v37, v72, v36
	v_mul_f16_e32 v81, v54, v36
	;; [unrolled: 1-line block ×4, first 2 shown]
	v_lshrrev_b32_e32 v34, 16, v45
	v_fma_f16 v54, v54, v42, -v37
	v_lshrrev_b32_e32 v37, 16, v44
	v_fma_f16 v56, v56, v43, -v36
	v_fmac_f16_e32 v81, v72, v42
	v_fmac_f16_e32 v85, v82, v43
	v_mul_f16_e32 v82, v61, v34
	v_mul_f16_e32 v36, v88, v37
	v_mul_f16_e32 v72, v59, v37
	s_wait_dscnt 0x3
	v_mul_f16_e32 v37, v70, v34
	v_add_f16_e32 v41, v19, v65
	v_fmac_f16_e32 v82, v70, v45
	v_fma_f16 v59, v59, v44, -v36
	s_wait_loadcnt 0x1
	v_lshrrev_b32_e32 v34, 16, v46
	v_lshrrev_b32_e32 v36, 16, v47
	;; [unrolled: 1-line block ×3, first 2 shown]
	v_fmac_f16_e32 v72, v88, v44
	v_fma_f16 v61, v61, v45, -v37
	v_mul_f16_e32 v37, v76, v34
	v_mul_f16_e32 v70, v55, v34
	v_lshrrev_b32_e32 v34, 16, v49
	v_mul_f16_e32 v39, v84, v36
	v_mul_f16_e32 v88, v57, v36
	;; [unrolled: 1-line block ×3, first 2 shown]
	v_fma_f16 v55, v55, v46, -v37
	v_fmac_f16_e32 v70, v76, v46
	v_mul_f16_e32 v76, v60, v38
	v_fmac_f16_e32 v88, v84, v47
	s_wait_dscnt 0x2
	v_mul_f16_e32 v37, v91, v34
	v_fma_f16 v60, v60, v48, -v36
	v_mul_f16_e32 v84, v63, v34
	v_fma_f16 v57, v57, v47, -v39
	v_fmac_f16_e32 v76, v90, v48
	s_wait_loadcnt 0x0
	v_lshrrev_b32_e32 v34, 16, v50
	v_lshrrev_b32_e32 v36, 16, v51
	v_fma_f16 v63, v63, v49, -v37
	v_lshrrev_b32_e32 v37, 16, v52
	v_lshrrev_b32_e32 v40, 16, v53
	v_mul_f16_e32 v38, v87, v34
	v_mul_f16_e32 v39, v75, v34
	;; [unrolled: 1-line block ×5, first 2 shown]
	v_fma_f16 v45, v75, v50, -v38
	s_wait_dscnt 0x1
	v_mul_f16_e32 v38, v92, v37
	v_fma_f16 v43, v68, v51, -v34
	v_add_f16_e32 v34, v73, v66
	s_wait_dscnt 0x0
	v_mul_f16_e32 v37, v35, v40
	v_fmac_f16_e32 v39, v87, v50
	v_fmac_f16_e32 v42, v80, v51
	v_sub_f16_e32 v48, v67, v66
	v_fma_f16 v36, -0.5, v34, v19
	v_sub_f16_e32 v34, v74, v89
	v_fma_f16 v50, v33, v53, -v37
	v_add_f16_e32 v37, v41, v73
	v_sub_f16_e32 v41, v65, v73
	v_add_f16_e32 v51, v65, v67
	v_fmac_f16_e32 v84, v91, v49
	v_fma_f16 v47, v83, v52, -v38
	v_fmamk_f16 v38, v34, 0x3b9c, v36
	v_sub_f16_e32 v46, v62, v86
	v_mul_f16_e32 v49, v33, v40
	v_add_f16_e32 v33, v37, v66
	v_add_f16_e32 v37, v41, v48
	v_fmac_f16_e32 v19, -0.5, v51
	v_fmac_f16_e32 v36, 0xbb9c, v34
	v_add_f16_e32 v48, v25, v74
	v_fmac_f16_e32 v38, 0x38b4, v46
	v_fmac_f16_e32 v49, v35, v53
	v_add_f16_e32 v40, v33, v67
	v_fmamk_f16 v41, v46, 0xbb9c, v19
	v_sub_f16_e32 v33, v73, v65
	v_sub_f16_e32 v35, v66, v67
	v_fmac_f16_e32 v36, 0xb8b4, v46
	v_add_f16_e32 v51, v62, v86
	v_fmac_f16_e32 v19, 0x3b9c, v46
	v_add_f16_e32 v46, v48, v62
	v_fmac_f16_e32 v44, v92, v52
	v_fmac_f16_e32 v38, 0x34f2, v37
	v_add_f16_e32 v35, v33, v35
	v_fma_f16 v33, -0.5, v51, v25
	v_sub_f16_e32 v48, v65, v67
	v_fmac_f16_e32 v36, 0x34f2, v37
	v_add_f16_e32 v37, v46, v86
	v_add_f16_e32 v46, v74, v89
	v_sub_f16_e32 v52, v74, v62
	v_sub_f16_e32 v53, v89, v86
	v_fmac_f16_e32 v41, 0x38b4, v34
	v_fmac_f16_e32 v19, 0xb8b4, v34
	v_fmamk_f16 v34, v48, 0xbb9c, v33
	v_sub_f16_e32 v51, v73, v66
	v_fmac_f16_e32 v25, -0.5, v46
	v_add_f16_e32 v46, v52, v53
	v_fmac_f16_e32 v33, 0x3b9c, v48
	v_sub_f16_e32 v52, v62, v74
	v_sub_f16_e32 v53, v86, v89
	v_fmac_f16_e32 v34, 0xb8b4, v51
	v_fmac_f16_e32 v41, 0x34f2, v35
	;; [unrolled: 1-line block ×4, first 2 shown]
	v_add_f16_e32 v52, v52, v53
	v_add_f16_e32 v53, v18, v64
	v_add_f16_e32 v35, v37, v89
	v_fmamk_f16 v37, v51, 0x3b9c, v25
	v_fmac_f16_e32 v34, 0x34f2, v46
	v_add_f16_e32 v62, v69, v58
	v_fmac_f16_e32 v33, 0x34f2, v46
	v_fmac_f16_e32 v25, 0xbb9c, v51
	v_add_f16_e32 v46, v53, v69
	v_add_f16_e32 v68, v64, v77
	v_fmac_f16_e32 v37, 0xb8b4, v48
	v_fma_f16 v62, -0.5, v62, v18
	v_sub_f16_e32 v65, v79, v78
	v_sub_f16_e32 v53, v93, v71
	;; [unrolled: 1-line block ×4, first 2 shown]
	v_fmac_f16_e32 v25, 0x38b4, v48
	v_add_f16_e32 v46, v46, v58
	v_fmac_f16_e32 v18, -0.5, v68
	v_fmac_f16_e32 v37, 0x34f2, v52
	v_fmamk_f16 v51, v65, 0x3b9c, v62
	v_add_f16_e32 v48, v66, v67
	v_fmac_f16_e32 v25, 0x34f2, v52
	v_add_f16_e32 v52, v46, v77
	v_fmac_f16_e32 v62, 0xbb9c, v65
	v_fmamk_f16 v66, v53, 0xbb9c, v18
	v_sub_f16_e32 v46, v69, v64
	v_sub_f16_e32 v67, v58, v77
	v_add_f16_e32 v68, v24, v79
	v_add_f16_e32 v73, v93, v71
	v_fmac_f16_e32 v18, 0x3b9c, v53
	v_fmac_f16_e32 v51, 0x38b4, v53
	;; [unrolled: 1-line block ×4, first 2 shown]
	v_add_f16_e32 v67, v46, v67
	v_add_f16_e32 v53, v68, v93
	v_fma_f16 v46, -0.5, v73, v24
	v_sub_f16_e32 v64, v64, v77
	v_fmac_f16_e32 v18, 0xb8b4, v65
	v_add_f16_e32 v65, v79, v78
	v_sub_f16_e32 v58, v69, v58
	v_sub_f16_e32 v68, v79, v93
	;; [unrolled: 1-line block ×3, first 2 shown]
	v_fmac_f16_e32 v51, 0x34f2, v48
	v_fmac_f16_e32 v62, 0x34f2, v48
	v_add_f16_e32 v53, v53, v71
	v_fmamk_f16 v48, v64, 0xbb9c, v46
	v_fmac_f16_e32 v24, -0.5, v65
	v_add_f16_e32 v65, v68, v69
	v_fmac_f16_e32 v46, 0x3b9c, v64
	v_sub_f16_e32 v68, v93, v79
	v_sub_f16_e32 v69, v71, v78
	v_add_f16_e32 v71, v56, v59
	v_fmac_f16_e32 v66, 0x34f2, v67
	v_fmac_f16_e32 v18, 0x34f2, v67
	;; [unrolled: 1-line block ×3, first 2 shown]
	v_fmamk_f16 v67, v58, 0x3b9c, v24
	v_fmac_f16_e32 v46, 0x38b4, v58
	v_add_f16_e32 v68, v68, v69
	v_add_f16_e32 v69, v13, v54
	v_fma_f16 v71, -0.5, v71, v13
	v_sub_f16_e32 v73, v81, v82
	v_fmac_f16_e32 v24, 0xbb9c, v58
	v_add_f16_e32 v77, v54, v61
	v_fmac_f16_e32 v48, 0x34f2, v65
	v_fmac_f16_e32 v67, 0xb8b4, v64
	;; [unrolled: 1-line block ×3, first 2 shown]
	v_add_f16_e32 v58, v69, v56
	v_fmamk_f16 v65, v73, 0x3b9c, v71
	v_sub_f16_e32 v69, v85, v72
	v_sub_f16_e32 v74, v54, v56
	;; [unrolled: 1-line block ×3, first 2 shown]
	v_fmac_f16_e32 v24, 0x38b4, v64
	v_fmac_f16_e32 v13, -0.5, v77
	v_fmac_f16_e32 v71, 0xbb9c, v73
	v_add_f16_e32 v77, v23, v81
	v_add_f16_e32 v53, v53, v78
	v_fmac_f16_e32 v67, 0x34f2, v68
	v_add_f16_e32 v58, v58, v59
	v_fmac_f16_e32 v65, 0x38b4, v69
	;; [unrolled: 2-line block ×3, first 2 shown]
	v_fmamk_f16 v68, v69, 0xbb9c, v13
	v_sub_f16_e32 v74, v56, v54
	v_sub_f16_e32 v75, v59, v61
	v_fmac_f16_e32 v71, 0xb8b4, v69
	v_add_f16_e32 v78, v85, v72
	v_fmac_f16_e32 v13, 0x3b9c, v69
	v_add_f16_e32 v69, v77, v85
	v_add_f16_e32 v58, v58, v61
	v_fmac_f16_e32 v68, 0x38b4, v73
	v_add_f16_e32 v74, v74, v75
	v_fma_f16 v75, -0.5, v78, v23
	v_sub_f16_e32 v54, v54, v61
	v_fmac_f16_e32 v13, 0xb8b4, v73
	v_add_f16_e32 v61, v69, v72
	v_add_f16_e32 v69, v81, v82
	v_sub_f16_e32 v56, v56, v59
	v_sub_f16_e32 v59, v81, v85
	;; [unrolled: 1-line block ×3, first 2 shown]
	v_fmac_f16_e32 v65, 0x34f2, v64
	v_fmac_f16_e32 v71, 0x34f2, v64
	;; [unrolled: 1-line block ×3, first 2 shown]
	v_fmamk_f16 v64, v54, 0xbb9c, v75
	v_fmac_f16_e32 v13, 0x34f2, v74
	v_fmac_f16_e32 v23, -0.5, v69
	v_add_f16_e32 v59, v59, v73
	v_fmac_f16_e32 v75, 0x3b9c, v54
	v_sub_f16_e32 v73, v85, v81
	v_sub_f16_e32 v72, v72, v82
	v_add_f16_e32 v74, v57, v60
	v_fmac_f16_e32 v64, 0xb8b4, v56
	v_fmamk_f16 v69, v56, 0x3b9c, v23
	v_fmac_f16_e32 v75, 0x38b4, v56
	v_add_f16_e32 v72, v73, v72
	v_add_f16_e32 v73, v12, v55
	v_fma_f16 v74, -0.5, v74, v12
	v_sub_f16_e32 v77, v70, v84
	v_fmac_f16_e32 v23, 0xbb9c, v56
	v_add_f16_e32 v80, v55, v63
	v_fmac_f16_e32 v64, 0x34f2, v59
	v_fmac_f16_e32 v69, 0xb8b4, v54
	;; [unrolled: 1-line block ×3, first 2 shown]
	v_add_f16_e32 v56, v73, v57
	v_fmamk_f16 v59, v77, 0x3b9c, v74
	v_sub_f16_e32 v73, v88, v76
	v_sub_f16_e32 v78, v55, v57
	;; [unrolled: 1-line block ×3, first 2 shown]
	v_fmac_f16_e32 v23, 0x38b4, v54
	v_fmac_f16_e32 v12, -0.5, v80
	v_fmac_f16_e32 v74, 0xbb9c, v77
	v_add_f16_e32 v80, v4, v70
	v_fmac_f16_e32 v69, 0x34f2, v72
	v_add_f16_e32 v54, v56, v60
	;; [unrolled: 2-line block ×3, first 2 shown]
	v_fmac_f16_e32 v23, 0x34f2, v72
	v_fmamk_f16 v72, v73, 0xbb9c, v12
	v_sub_f16_e32 v78, v57, v55
	v_sub_f16_e32 v79, v60, v63
	v_fmac_f16_e32 v74, 0xb8b4, v73
	v_add_f16_e32 v81, v88, v76
	v_fmac_f16_e32 v12, 0x3b9c, v73
	v_add_f16_e32 v73, v80, v88
	v_fmac_f16_e32 v59, 0x34f2, v56
	v_fmac_f16_e32 v72, 0x38b4, v77
	v_add_f16_e32 v78, v78, v79
	v_fma_f16 v79, -0.5, v81, v4
	v_sub_f16_e32 v55, v55, v63
	v_fmac_f16_e32 v74, 0x34f2, v56
	v_fmac_f16_e32 v12, 0xb8b4, v77
	v_add_f16_e32 v56, v73, v76
	v_add_f16_e32 v73, v70, v84
	v_sub_f16_e32 v57, v57, v60
	v_sub_f16_e32 v60, v70, v88
	;; [unrolled: 1-line block ×3, first 2 shown]
	v_add_f16_e32 v54, v54, v63
	v_fmamk_f16 v63, v55, 0xbb9c, v79
	v_fmac_f16_e32 v4, -0.5, v73
	v_fmac_f16_e32 v79, 0x3b9c, v55
	v_add_f16_e32 v60, v60, v77
	v_sub_f16_e32 v70, v88, v70
	v_sub_f16_e32 v76, v76, v84
	v_add_f16_e32 v77, v43, v47
	v_fmac_f16_e32 v63, 0xb8b4, v57
	v_fmamk_f16 v73, v57, 0x3b9c, v4
	v_fmac_f16_e32 v79, 0x38b4, v57
	v_add_f16_e32 v70, v70, v76
	v_fmac_f16_e32 v4, 0xbb9c, v57
	v_add_f16_e32 v57, v17, v45
	v_fma_f16 v76, -0.5, v77, v17
	v_sub_f16_e32 v77, v39, v49
	v_fmac_f16_e32 v72, 0x34f2, v78
	v_fmac_f16_e32 v12, 0x34f2, v78
	;; [unrolled: 1-line block ×6, first 2 shown]
	v_add_f16_e32 v55, v57, v43
	v_fmamk_f16 v57, v77, 0x3b9c, v76
	v_sub_f16_e32 v60, v42, v44
	v_sub_f16_e32 v78, v45, v43
	;; [unrolled: 1-line block ×3, first 2 shown]
	v_fmac_f16_e32 v76, 0xbb9c, v77
	v_add_f16_e32 v81, v45, v50
	v_fmac_f16_e32 v57, 0x38b4, v60
	v_add_f16_e32 v61, v61, v82
	v_add_f16_e32 v78, v78, v80
	v_fmac_f16_e32 v76, 0xb8b4, v60
	v_fmac_f16_e32 v17, -0.5, v81
	v_fmac_f16_e32 v73, 0x34f2, v70
	v_add_f16_e32 v55, v55, v47
	v_fmac_f16_e32 v57, 0x34f2, v78
	v_fmac_f16_e32 v76, 0x34f2, v78
	v_add_f16_e32 v78, v22, v39
	v_fmac_f16_e32 v4, 0x34f2, v70
	v_fmamk_f16 v70, v60, 0xbb9c, v17
	v_add_f16_e32 v80, v42, v44
	v_sub_f16_e32 v81, v43, v45
	v_sub_f16_e32 v82, v47, v50
	v_fmac_f16_e32 v17, 0x3b9c, v60
	v_add_f16_e32 v60, v78, v42
	v_add_f16_e32 v55, v55, v50
	v_fma_f16 v78, -0.5, v80, v22
	v_sub_f16_e32 v45, v45, v50
	v_fmac_f16_e32 v70, 0x38b4, v77
	v_add_f16_e32 v50, v81, v82
	v_fmac_f16_e32 v17, 0xb8b4, v77
	v_add_f16_e32 v60, v60, v44
	v_add_f16_e32 v80, v39, v49
	global_wb scope:SCOPE_SE
	s_barrier_signal -1
	s_barrier_wait -1
	global_inv scope:SCOPE_SE
	ds_store_b16 v5, v40
	ds_store_b16 v5, v38 offset:50
	ds_store_b16 v5, v41 offset:100
	;; [unrolled: 1-line block ×4, first 2 shown]
	v_mul_u32_u24_e32 v19, 0xfa, v30
	v_fmamk_f16 v77, v45, 0xbb9c, v78
	v_sub_f16_e32 v43, v43, v47
	v_fmac_f16_e32 v70, 0x34f2, v50
	v_fmac_f16_e32 v17, 0x34f2, v50
	v_add_f16_e32 v47, v60, v49
	v_fmac_f16_e32 v22, -0.5, v80
	v_sub_f16_e32 v50, v39, v42
	v_sub_f16_e32 v60, v49, v44
	v_fmac_f16_e32 v78, 0x3b9c, v45
	ds_store_b16 v32, v52
	ds_store_b16 v32, v51 offset:50
	ds_store_b16 v32, v66 offset:100
	;; [unrolled: 1-line block ×4, first 2 shown]
	v_add3_u32 v27, 0, v19, v20
	v_mul_u32_u24_e32 v18, 0xfa, v21
	v_lshlrev_b32_e32 v19, 1, v28
	v_add_f16_e32 v56, v56, v84
	v_fmac_f16_e32 v77, 0xb8b4, v43
	v_fmamk_f16 v80, v43, 0x3b9c, v22
	v_sub_f16_e32 v39, v42, v39
	v_sub_f16_e32 v42, v44, v49
	v_fmac_f16_e32 v22, 0xbb9c, v43
	v_add_f16_e32 v44, v50, v60
	v_fmac_f16_e32 v78, 0x38b4, v43
	ds_store_b16 v26, v58
	ds_store_b16 v26, v65 offset:50
	ds_store_b16 v26, v68 offset:100
	;; [unrolled: 1-line block ×4, first 2 shown]
	v_add3_u32 v28, 0, v18, v19
	ds_store_b16 v27, v54
	ds_store_b16 v27, v59 offset:50
	ds_store_b16 v27, v72 offset:100
	;; [unrolled: 1-line block ×4, first 2 shown]
	ds_store_b16 v28, v55
	ds_store_b16 v28, v57 offset:50
	ds_store_b16 v28, v70 offset:100
	;; [unrolled: 1-line block ×4, first 2 shown]
	v_dual_mov_b32 v13, 0 :: v_dual_lshlrev_b32 v12, 2, v14
	v_fmac_f16_e32 v80, 0xb8b4, v45
	v_fmac_f16_e32 v22, 0x38b4, v45
	;; [unrolled: 1-line block ×4, first 2 shown]
	global_wb scope:SCOPE_SE
	s_wait_dscnt 0x0
	s_barrier_signal -1
	s_barrier_wait -1
	global_inv scope:SCOPE_SE
	ds_load_u16 v29, v15 offset:1750
	ds_load_u16 v21, v15
	ds_load_u16 v20, v15 offset:250
	ds_load_u16 v18, v15 offset:500
	;; [unrolled: 1-line block ×23, first 2 shown]
	global_wb scope:SCOPE_SE
	s_wait_dscnt 0x0
	s_barrier_signal -1
	s_barrier_wait -1
	global_inv scope:SCOPE_SE
	ds_store_b16 v5, v35
	ds_store_b16 v5, v34 offset:50
	ds_store_b16 v5, v37 offset:100
	ds_store_b16 v5, v25 offset:150
	ds_store_b16 v5, v33 offset:200
	ds_store_b16 v32, v53
	ds_store_b16 v32, v48 offset:50
	ds_store_b16 v32, v67 offset:100
	ds_store_b16 v32, v24 offset:150
	ds_store_b16 v32, v46 offset:200
	;; [unrolled: 5-line block ×4, first 2 shown]
	v_lshlrev_b64_e32 v[4:5], 2, v[12:13]
	v_sub_nc_u16 v12, v7, v3
	v_add_f16_e32 v39, v39, v42
	s_delay_alu instid0(VALU_DEP_2) | instskip(NEXT) | instid1(VALU_DEP_4)
	v_lshrrev_b16 v12, 1, v12
	v_add_co_u32 v4, s0, s8, v4
	s_wait_alu 0xf1ff
	v_add_co_ci_u32_e64 v5, s0, s9, v5, s0
	s_delay_alu instid0(VALU_DEP_3)
	v_add_nc_u16 v3, v12, v3
	v_sub_nc_u16 v12, v16, v1
	v_fmac_f16_e32 v80, 0x34f2, v39
	v_fmac_f16_e32 v22, 0x34f2, v39
	ds_store_b16 v28, v47
	ds_store_b16 v28, v77 offset:50
	ds_store_b16 v28, v80 offset:100
	;; [unrolled: 1-line block ×4, first 2 shown]
	v_lshrrev_b16 v3, 6, v3
	global_wb scope:SCOPE_SE
	s_wait_dscnt 0x0
	s_barrier_signal -1
	s_barrier_wait -1
	global_inv scope:SCOPE_SE
	v_mul_lo_u16 v3, 0x7d, v3
	global_load_b128 v[25:28], v[4:5], off offset:480
	v_lshrrev_b16 v12, 1, v12
	v_sub_nc_u16 v3, v7, v3
	s_delay_alu instid0(VALU_DEP_2) | instskip(NEXT) | instid1(VALU_DEP_2)
	v_add_nc_u16 v1, v12, v1
	v_and_b32_e32 v22, 0xffff, v3
	s_delay_alu instid0(VALU_DEP_2) | instskip(NEXT) | instid1(VALU_DEP_2)
	v_lshrrev_b16 v1, 6, v1
	v_lshlrev_b32_e32 v3, 4, v22
	s_delay_alu instid0(VALU_DEP_2) | instskip(SKIP_3) | instid1(VALU_DEP_2)
	v_mul_lo_u16 v1, 0x7d, v1
	global_load_b128 v[31:34], v3, s[8:9] offset:480
	v_sub_nc_u16 v3, v0, v2
	v_sub_nc_u16 v1, v16, v1
	v_lshrrev_b16 v3, 1, v3
	s_delay_alu instid0(VALU_DEP_2) | instskip(NEXT) | instid1(VALU_DEP_2)
	v_and_b32_e32 v23, 0xffff, v1
	v_add_nc_u16 v1, v3, v2
	s_delay_alu instid0(VALU_DEP_2) | instskip(NEXT) | instid1(VALU_DEP_2)
	v_lshlrev_b32_e32 v2, 4, v23
	v_lshrrev_b16 v1, 6, v1
	global_load_b128 v[35:38], v2, s[8:9] offset:480
	v_mul_lo_u16 v1, 0x7d, v1
	s_delay_alu instid0(VALU_DEP_1) | instskip(NEXT) | instid1(VALU_DEP_1)
	v_sub_nc_u16 v1, v0, v1
	v_and_b32_e32 v24, 0xffff, v1
	s_delay_alu instid0(VALU_DEP_1)
	v_lshlrev_b32_e32 v1, 4, v24
	global_load_b128 v[39:42], v1, s[8:9] offset:480
	ds_load_u16 v46, v15 offset:3750
	ds_load_u16 v47, v15 offset:1250
	;; [unrolled: 1-line block ×4, first 2 shown]
	ds_load_u16 v30, v15
	ds_load_u16 v3, v15 offset:250
	ds_load_u16 v2, v15 offset:500
	ds_load_u16 v1, v15 offset:750
	ds_load_u16 v56, v15 offset:2000
	ds_load_u16 v61, v15 offset:2500
	ds_load_u16 v63, v15 offset:2750
	ds_load_u16 v64, v15 offset:3000
	ds_load_u16 v67, v15 offset:3250
	ds_load_u16 v69, v15 offset:4000
	ds_load_u16 v72, v15 offset:4250
	ds_load_u16 v73, v15 offset:4500
	ds_load_u16 v74, v15 offset:5000
	ds_load_u16 v75, v15 offset:5250
	ds_load_u16 v76, v15 offset:5500
	ds_load_u16 v77, v15 offset:5750
	ds_load_u16 v12, v15 offset:1000
	ds_load_u16 v79, v15 offset:3500
	ds_load_u16 v80, v15 offset:2250
	ds_load_u16 v81, v15 offset:4750
	s_wait_loadcnt 0x3
	v_lshrrev_b32_e32 v78, 16, v25
	v_lshrrev_b32_e32 v82, 16, v26
	;; [unrolled: 1-line block ×4, first 2 shown]
	s_delay_alu instid0(VALU_DEP_4)
	v_mul_f16_e32 v85, v57, v78
	s_wait_dscnt 0x16
	v_mul_f16_e32 v83, v47, v78
	s_wait_dscnt 0xe
	v_mul_f16_e32 v87, v61, v82
	v_fmac_f16_e32 v85, v47, v25
	v_mul_f16_e32 v47, v46, v84
	v_fma_f16 v57, v57, v25, -v83
	v_mul_f16_e32 v83, v62, v82
	v_fma_f16 v62, v62, v26, -v87
	;; [unrolled: 2-line block ×3, first 2 shown]
	v_mul_f16_e32 v58, v68, v86
	v_fmac_f16_e32 v83, v61, v26
	s_wait_dscnt 0x7
	v_mul_f16_e32 v61, v74, v86
	v_fmac_f16_e32 v87, v46, v27
	v_mul_f16_e32 v46, v48, v78
	v_mul_f16_e32 v78, v55, v78
	v_fmac_f16_e32 v58, v74, v28
	v_mul_f16_e32 v74, v63, v82
	v_mul_f16_e32 v82, v60, v82
	v_fma_f16 v55, v55, v25, -v46
	v_fmac_f16_e32 v78, v48, v25
	v_mul_f16_e32 v25, v69, v84
	v_fma_f16 v48, v60, v26, -v74
	v_fmac_f16_e32 v82, v63, v26
	s_wait_dscnt 0x6
	v_mul_f16_e32 v26, v75, v86
	v_mul_f16_e32 v60, v49, v84
	v_fma_f16 v49, v49, v27, -v25
	v_mul_f16_e32 v63, v66, v86
	s_wait_loadcnt 0x2
	v_lshrrev_b32_e32 v25, 16, v31
	v_fma_f16 v66, v66, v28, -v26
	v_lshrrev_b32_e32 v26, 16, v32
	v_fma_f16 v61, v68, v28, -v61
	v_fmac_f16_e32 v60, v69, v27
	v_fmac_f16_e32 v63, v75, v28
	v_lshrrev_b32_e32 v27, 16, v33
	v_mul_f16_e32 v28, v53, v25
	v_mul_f16_e32 v69, v29, v25
	;; [unrolled: 1-line block ×3, first 2 shown]
	v_lshrrev_b32_e32 v46, 16, v34
	v_mul_f16_e32 v74, v44, v26
	ds_load_u16 v68, v15 offset:6000
	v_fma_f16 v75, v29, v31, -v28
	v_fma_f16 v44, v44, v32, -v25
	v_mul_f16_e32 v25, v72, v27
	s_wait_dscnt 0x6
	v_mul_f16_e32 v26, v76, v46
	v_fmac_f16_e32 v69, v53, v31
	v_fmac_f16_e32 v74, v64, v32
	v_mul_f16_e32 v53, v50, v27
	v_mul_f16_e32 v64, v52, v46
	v_fma_f16 v50, v50, v33, -v25
	s_wait_loadcnt 0x1
	v_lshrrev_b32_e32 v25, 16, v35
	v_fma_f16 v52, v52, v34, -v26
	v_lshrrev_b32_e32 v26, 16, v36
	v_lshrrev_b32_e32 v28, 16, v37
	v_fmac_f16_e32 v53, v72, v33
	v_fmac_f16_e32 v64, v76, v34
	v_mul_f16_e32 v27, v56, v25
	v_mul_f16_e32 v72, v43, v25
	v_lshrrev_b32_e32 v25, 16, v38
	v_mul_f16_e32 v29, v67, v26
	v_mul_f16_e32 v76, v45, v26
	;; [unrolled: 1-line block ×3, first 2 shown]
	v_fma_f16 v43, v43, v35, -v27
	v_fmac_f16_e32 v72, v56, v35
	v_mul_f16_e32 v56, v51, v28
	v_fmac_f16_e32 v76, v67, v36
	s_wait_dscnt 0x5
	v_mul_f16_e32 v27, v77, v25
	v_fma_f16 v51, v51, v37, -v26
	v_mul_f16_e32 v67, v54, v25
	s_wait_loadcnt 0x0
	v_lshrrev_b32_e32 v25, 16, v39
	v_lshrrev_b32_e32 v26, 16, v40
	v_fma_f16 v45, v45, v36, -v29
	v_fma_f16 v54, v54, v38, -v27
	v_lshrrev_b32_e32 v28, 16, v41
	s_wait_dscnt 0x2
	v_mul_f16_e32 v29, v80, v25
	v_mul_f16_e32 v31, v79, v26
	;; [unrolled: 1-line block ×3, first 2 shown]
	v_lshrrev_b32_e32 v32, 16, v42
	v_add_f16_e32 v26, v62, v47
	v_fmac_f16_e32 v67, v77, v38
	v_mul_f16_e32 v25, v65, v25
	v_fma_f16 v38, v65, v39, -v29
	v_fma_f16 v29, v59, v40, -v31
	s_wait_dscnt 0x1
	v_mul_f16_e32 v33, v81, v28
	v_mul_f16_e32 v31, v70, v28
	s_wait_dscnt 0x0
	v_mul_f16_e32 v28, v68, v32
	v_add_f16_e32 v34, v21, v57
	v_fma_f16 v26, -0.5, v26, v21
	v_sub_f16_e32 v35, v85, v58
	v_add_f16_e32 v46, v57, v61
	v_fmac_f16_e32 v56, v73, v37
	v_fmac_f16_e32 v25, v80, v39
	;; [unrolled: 1-line block ×3, first 2 shown]
	v_fma_f16 v39, v70, v41, -v33
	v_fmac_f16_e32 v31, v81, v41
	v_fma_f16 v40, v71, v42, -v28
	v_add_f16_e32 v33, v34, v62
	v_fmamk_f16 v28, v35, 0x3b9c, v26
	v_sub_f16_e32 v34, v83, v87
	v_sub_f16_e32 v36, v57, v62
	;; [unrolled: 1-line block ×3, first 2 shown]
	v_mul_f16_e32 v37, v71, v32
	v_fmac_f16_e32 v21, -0.5, v46
	v_fmac_f16_e32 v26, 0xbb9c, v35
	v_add_f16_e32 v46, v30, v85
	v_add_f16_e32 v32, v33, v47
	v_fmac_f16_e32 v28, 0x38b4, v34
	v_add_f16_e32 v41, v36, v41
	v_fmac_f16_e32 v37, v68, v42
	v_fmamk_f16 v36, v34, 0xbb9c, v21
	v_sub_f16_e32 v33, v62, v57
	v_sub_f16_e32 v42, v47, v61
	v_fmac_f16_e32 v26, 0xb8b4, v34
	v_add_f16_e32 v59, v83, v87
	v_fmac_f16_e32 v21, 0x3b9c, v34
	v_add_f16_e32 v34, v46, v83
	v_fmac_f16_e32 v28, 0x34f2, v41
	v_fmac_f16_e32 v36, 0x38b4, v35
	v_add_f16_e32 v42, v33, v42
	v_fma_f16 v33, -0.5, v59, v30
	v_sub_f16_e32 v57, v57, v61
	v_fmac_f16_e32 v26, 0x34f2, v41
	v_fmac_f16_e32 v21, 0xb8b4, v35
	v_add_f16_e32 v35, v34, v87
	v_add_f16_e32 v41, v85, v58
	v_sub_f16_e32 v46, v85, v83
	v_sub_f16_e32 v59, v58, v87
	v_fmac_f16_e32 v36, 0x34f2, v42
	v_fmamk_f16 v34, v57, 0xbb9c, v33
	v_sub_f16_e32 v47, v62, v47
	v_fmac_f16_e32 v21, 0x34f2, v42
	v_fmac_f16_e32 v30, -0.5, v41
	v_add_f16_e32 v35, v35, v58
	v_add_f16_e32 v41, v46, v59
	v_fmac_f16_e32 v33, 0x3b9c, v57
	v_sub_f16_e32 v42, v83, v85
	v_sub_f16_e32 v58, v87, v58
	v_add_f16_e32 v59, v48, v49
	v_add_f16_e32 v32, v32, v61
	v_fmac_f16_e32 v34, 0xb8b4, v47
	v_fmamk_f16 v46, v47, 0x3b9c, v30
	v_fmac_f16_e32 v33, 0x38b4, v47
	v_add_f16_e32 v42, v42, v58
	v_add_f16_e32 v58, v20, v55
	v_fma_f16 v59, -0.5, v59, v20
	v_sub_f16_e32 v61, v78, v63
	v_fmac_f16_e32 v30, 0xbb9c, v47
	v_add_f16_e32 v68, v55, v66
	v_fmac_f16_e32 v34, 0x34f2, v41
	v_fmac_f16_e32 v46, 0xb8b4, v57
	;; [unrolled: 1-line block ×3, first 2 shown]
	v_add_f16_e32 v41, v58, v48
	v_fmamk_f16 v47, v61, 0x3b9c, v59
	v_sub_f16_e32 v58, v82, v60
	v_sub_f16_e32 v62, v55, v48
	;; [unrolled: 1-line block ×3, first 2 shown]
	v_fmac_f16_e32 v30, 0x38b4, v57
	v_fmac_f16_e32 v20, -0.5, v68
	v_fmac_f16_e32 v59, 0xbb9c, v61
	v_add_f16_e32 v68, v3, v78
	v_fmac_f16_e32 v46, 0x34f2, v42
	v_fmac_f16_e32 v47, 0x38b4, v58
	v_add_f16_e32 v57, v62, v65
	v_fmac_f16_e32 v30, 0x34f2, v42
	v_fmamk_f16 v42, v58, 0xbb9c, v20
	v_sub_f16_e32 v62, v48, v55
	v_sub_f16_e32 v65, v49, v66
	v_fmac_f16_e32 v59, 0xb8b4, v58
	v_add_f16_e32 v70, v82, v60
	v_fmac_f16_e32 v20, 0x3b9c, v58
	v_add_f16_e32 v58, v68, v82
	v_add_f16_e32 v41, v41, v49
	v_fmac_f16_e32 v47, 0x34f2, v57
	v_fmac_f16_e32 v42, 0x38b4, v61
	v_add_f16_e32 v62, v62, v65
	v_fma_f16 v65, -0.5, v70, v3
	v_sub_f16_e32 v55, v55, v66
	v_fmac_f16_e32 v59, 0x34f2, v57
	v_fmac_f16_e32 v20, 0xb8b4, v61
	v_add_f16_e32 v57, v58, v60
	v_add_f16_e32 v61, v78, v63
	;; [unrolled: 1-line block ×3, first 2 shown]
	v_fmac_f16_e32 v42, 0x34f2, v62
	v_fmamk_f16 v58, v55, 0xbb9c, v65
	v_sub_f16_e32 v48, v48, v49
	v_sub_f16_e32 v49, v78, v82
	;; [unrolled: 1-line block ×3, first 2 shown]
	v_fmac_f16_e32 v20, 0x34f2, v62
	v_fmac_f16_e32 v3, -0.5, v61
	v_add_f16_e32 v57, v57, v63
	v_fmac_f16_e32 v65, 0x3b9c, v55
	v_sub_f16_e32 v62, v82, v78
	v_sub_f16_e32 v60, v60, v63
	v_add_f16_e32 v63, v44, v50
	v_fmac_f16_e32 v58, 0xb8b4, v48
	v_add_f16_e32 v49, v49, v66
	v_fmamk_f16 v61, v48, 0x3b9c, v3
	v_fmac_f16_e32 v65, 0x38b4, v48
	v_add_f16_e32 v60, v62, v60
	v_add_f16_e32 v62, v18, v75
	v_fma_f16 v63, -0.5, v63, v18
	v_sub_f16_e32 v66, v69, v64
	v_fmac_f16_e32 v3, 0xbb9c, v48
	v_add_f16_e32 v71, v75, v52
	v_fmac_f16_e32 v58, 0x34f2, v49
	v_fmac_f16_e32 v61, 0xb8b4, v55
	;; [unrolled: 1-line block ×3, first 2 shown]
	v_add_f16_e32 v48, v62, v44
	v_fmamk_f16 v49, v66, 0x3b9c, v63
	v_sub_f16_e32 v62, v74, v53
	v_sub_f16_e32 v68, v75, v44
	v_sub_f16_e32 v70, v52, v50
	v_fmac_f16_e32 v3, 0x38b4, v55
	v_fmac_f16_e32 v18, -0.5, v71
	v_fmac_f16_e32 v63, 0xbb9c, v66
	v_add_f16_e32 v71, v2, v69
	v_fmac_f16_e32 v61, 0x34f2, v60
	v_add_f16_e32 v48, v48, v50
	;; [unrolled: 2-line block ×3, first 2 shown]
	v_fmac_f16_e32 v3, 0x34f2, v60
	v_fmamk_f16 v60, v62, 0xbb9c, v18
	v_sub_f16_e32 v68, v44, v75
	v_sub_f16_e32 v70, v50, v52
	v_fmac_f16_e32 v63, 0xb8b4, v62
	v_add_f16_e32 v73, v74, v53
	v_fmac_f16_e32 v18, 0x3b9c, v62
	v_add_f16_e32 v62, v71, v74
	v_add_f16_e32 v48, v48, v52
	v_fmac_f16_e32 v49, 0x34f2, v55
	v_fmac_f16_e32 v60, 0x38b4, v66
	v_add_f16_e32 v68, v68, v70
	v_fma_f16 v70, -0.5, v73, v2
	v_sub_f16_e32 v52, v75, v52
	v_fmac_f16_e32 v63, 0x34f2, v55
	v_fmac_f16_e32 v18, 0xb8b4, v66
	v_add_f16_e32 v55, v62, v53
	v_add_f16_e32 v66, v69, v64
	v_fmac_f16_e32 v60, 0x34f2, v68
	v_fmamk_f16 v62, v52, 0xbb9c, v70
	v_sub_f16_e32 v44, v44, v50
	v_sub_f16_e32 v50, v69, v74
	v_sub_f16_e32 v71, v64, v53
	v_fmac_f16_e32 v18, 0x34f2, v68
	v_fmac_f16_e32 v2, -0.5, v66
	v_add_f16_e32 v55, v55, v64
	v_fmac_f16_e32 v70, 0x3b9c, v52
	v_sub_f16_e32 v68, v74, v69
	v_sub_f16_e32 v53, v53, v64
	v_add_f16_e32 v64, v45, v51
	v_fmac_f16_e32 v62, 0xb8b4, v44
	v_add_f16_e32 v50, v50, v71
	v_fmamk_f16 v66, v44, 0x3b9c, v2
	v_fmac_f16_e32 v70, 0x38b4, v44
	v_add_f16_e32 v53, v68, v53
	v_add_f16_e32 v68, v17, v43
	v_fma_f16 v64, -0.5, v64, v17
	v_sub_f16_e32 v69, v72, v67
	v_fmac_f16_e32 v2, 0xbb9c, v44
	v_add_f16_e32 v74, v43, v54
	v_fmac_f16_e32 v62, 0x34f2, v50
	v_fmac_f16_e32 v66, 0xb8b4, v52
	;; [unrolled: 1-line block ×3, first 2 shown]
	v_add_f16_e32 v44, v68, v45
	v_fmamk_f16 v50, v69, 0x3b9c, v64
	v_sub_f16_e32 v68, v76, v56
	v_sub_f16_e32 v71, v43, v45
	;; [unrolled: 1-line block ×3, first 2 shown]
	v_fmac_f16_e32 v2, 0x38b4, v52
	v_fmac_f16_e32 v17, -0.5, v74
	v_fmac_f16_e32 v64, 0xbb9c, v69
	v_add_f16_e32 v74, v1, v72
	v_fmac_f16_e32 v66, 0x34f2, v53
	v_fmac_f16_e32 v50, 0x38b4, v68
	v_add_f16_e32 v52, v71, v73
	v_fmac_f16_e32 v2, 0x34f2, v53
	v_fmamk_f16 v53, v68, 0xbb9c, v17
	v_sub_f16_e32 v71, v45, v43
	v_sub_f16_e32 v73, v51, v54
	v_fmac_f16_e32 v64, 0xb8b4, v68
	v_add_f16_e32 v75, v76, v56
	v_fmac_f16_e32 v17, 0x3b9c, v68
	v_add_f16_e32 v68, v74, v76
	v_add_f16_e32 v44, v44, v51
	v_fmac_f16_e32 v50, 0x34f2, v52
	v_fmac_f16_e32 v53, 0x38b4, v69
	v_add_f16_e32 v71, v71, v73
	v_fma_f16 v73, -0.5, v75, v1
	v_sub_f16_e32 v43, v43, v54
	v_fmac_f16_e32 v64, 0x34f2, v52
	v_fmac_f16_e32 v17, 0xb8b4, v69
	v_add_f16_e32 v52, v68, v56
	v_add_f16_e32 v68, v72, v67
	v_sub_f16_e32 v45, v45, v51
	v_sub_f16_e32 v51, v72, v76
	;; [unrolled: 1-line block ×3, first 2 shown]
	v_add_f16_e32 v44, v44, v54
	v_fmamk_f16 v54, v43, 0xbb9c, v73
	v_fmac_f16_e32 v1, -0.5, v68
	v_add_f16_e32 v52, v52, v67
	v_add_f16_e32 v51, v51, v69
	v_fmac_f16_e32 v73, 0x3b9c, v43
	v_sub_f16_e32 v69, v76, v72
	v_sub_f16_e32 v56, v56, v67
	v_add_f16_e32 v67, v29, v39
	v_fmac_f16_e32 v54, 0xb8b4, v45
	v_fmamk_f16 v68, v45, 0x3b9c, v1
	v_fmac_f16_e32 v73, 0x38b4, v45
	v_add_f16_e32 v56, v69, v56
	v_fmac_f16_e32 v1, 0xbb9c, v45
	v_add_f16_e32 v45, v19, v38
	v_fma_f16 v67, -0.5, v67, v19
	v_sub_f16_e32 v69, v25, v37
	v_fmac_f16_e32 v53, 0x34f2, v71
	v_fmac_f16_e32 v17, 0x34f2, v71
	;; [unrolled: 1-line block ×6, first 2 shown]
	v_add_f16_e32 v43, v45, v29
	v_fmamk_f16 v45, v69, 0x3b9c, v67
	v_sub_f16_e32 v51, v27, v31
	v_sub_f16_e32 v71, v38, v29
	;; [unrolled: 1-line block ×3, first 2 shown]
	v_fmac_f16_e32 v67, 0xbb9c, v69
	v_add_f16_e32 v74, v38, v40
	v_add_f16_e32 v43, v43, v39
	v_fmac_f16_e32 v45, 0x38b4, v51
	v_add_f16_e32 v71, v71, v72
	v_fmac_f16_e32 v67, 0xb8b4, v51
	v_fmac_f16_e32 v19, -0.5, v74
	v_sub_f16_e32 v72, v29, v38
	v_sub_f16_e32 v74, v39, v40
	v_fmac_f16_e32 v68, 0x34f2, v56
	v_fmac_f16_e32 v1, 0x34f2, v56
	v_add_f16_e32 v43, v43, v40
	v_fmac_f16_e32 v45, 0x34f2, v71
	v_fmac_f16_e32 v67, 0x34f2, v71
	v_fmamk_f16 v56, v51, 0xbb9c, v19
	v_add_f16_e32 v71, v27, v31
	v_fmac_f16_e32 v19, 0x3b9c, v51
	v_add_f16_e32 v51, v12, v25
	v_sub_f16_e32 v38, v38, v40
	v_add_f16_e32 v40, v72, v74
	v_add_f16_e32 v72, v25, v37
	v_fma_f16 v71, -0.5, v71, v12
	v_fmac_f16_e32 v56, 0x38b4, v69
	v_fmac_f16_e32 v19, 0xb8b4, v69
	v_add_f16_e32 v51, v51, v27
	v_sub_f16_e32 v29, v29, v39
	v_fmac_f16_e32 v12, -0.5, v72
	v_fmamk_f16 v69, v38, 0xbb9c, v71
	v_fmac_f16_e32 v56, 0x34f2, v40
	v_fmac_f16_e32 v19, 0x34f2, v40
	v_add_f16_e32 v39, v51, v31
	v_sub_f16_e32 v40, v25, v27
	v_sub_f16_e32 v51, v37, v31
	v_fmac_f16_e32 v71, 0x3b9c, v38
	v_fmamk_f16 v72, v29, 0x3b9c, v12
	v_sub_f16_e32 v25, v27, v25
	v_sub_f16_e32 v27, v31, v37
	v_fmac_f16_e32 v12, 0xbb9c, v29
	v_fmac_f16_e32 v69, 0xb8b4, v29
	v_add_f16_e32 v31, v40, v51
	v_fmac_f16_e32 v71, 0x38b4, v29
	v_fmac_f16_e32 v72, 0xb8b4, v38
	v_add_f16_e32 v25, v25, v27
	v_fmac_f16_e32 v12, 0x38b4, v38
	global_wb scope:SCOPE_SE
	s_barrier_signal -1
	s_barrier_wait -1
	global_inv scope:SCOPE_SE
	ds_store_b16 v15, v32
	ds_store_b16 v15, v28 offset:250
	ds_store_b16 v15, v36 offset:500
	;; [unrolled: 1-line block ×7, first 2 shown]
	v_lshl_add_u32 v47, v22, 1, 0
	v_add_f16_e32 v51, v39, v37
	v_fmac_f16_e32 v69, 0x34f2, v31
	v_fmac_f16_e32 v71, 0x34f2, v31
	;; [unrolled: 1-line block ×4, first 2 shown]
	ds_store_b16 v15, v20 offset:2000
	ds_store_b16 v15, v59 offset:2250
	v_lshl_add_u32 v59, v23, 1, 0
	v_lshl_add_u32 v74, v24, 1, 0
	ds_store_b16 v47, v48 offset:2500
	ds_store_b16 v47, v49 offset:2750
	;; [unrolled: 1-line block ×15, first 2 shown]
	global_wb scope:SCOPE_SE
	s_wait_dscnt 0x0
	s_barrier_signal -1
	s_barrier_wait -1
	global_inv scope:SCOPE_SE
	ds_load_u16 v26, v15 offset:1750
	ds_load_u16 v17, v15
	ds_load_u16 v18, v15 offset:250
	ds_load_u16 v19, v15 offset:500
	;; [unrolled: 1-line block ×23, first 2 shown]
	global_wb scope:SCOPE_SE
	s_wait_dscnt 0x0
	s_barrier_signal -1
	s_barrier_wait -1
	global_inv scope:SCOPE_SE
	ds_store_b16 v15, v35
	ds_store_b16 v15, v34 offset:250
	ds_store_b16 v15, v46 offset:500
	;; [unrolled: 1-line block ×24, first 2 shown]
	global_wb scope:SCOPE_SE
	s_wait_dscnt 0x0
	s_barrier_signal -1
	s_barrier_wait -1
	global_inv scope:SCOPE_SE
	s_and_saveexec_b32 s0, vcc_lo
	s_cbranch_execz .LBB0_15
; %bb.14:
	v_lshlrev_b32_e32 v12, 2, v0
	v_mul_lo_u32 v30, s2, v11
	v_lshlrev_b64_e32 v[8:9], 2, v[8:9]
	global_load_b128 v[46:49], v[4:5], off offset:2480
	v_lshlrev_b64_e32 v[0:1], 2, v[12:13]
	v_lshlrev_b32_e32 v12, 2, v16
	v_mul_lo_u32 v16, s3, v10
	v_mad_co_u64_u32 v[10:11], null, s2, v10, 0
	s_delay_alu instid0(VALU_DEP_4)
	v_add_co_u32 v0, vcc_lo, s8, v0
	s_wait_alu 0xfffd
	v_add_co_ci_u32_e32 v1, vcc_lo, s9, v1, vcc_lo
	v_lshlrev_b64_e32 v[4:5], 2, v[12:13]
	v_lshlrev_b32_e32 v12, 2, v7
	v_add3_u32 v11, v11, v30, v16
	global_load_b128 v[0:3], v[0:1], off offset:2480
	v_add_co_u32 v4, vcc_lo, s8, v4
	v_lshlrev_b64_e32 v[10:11], 2, v[10:11]
	s_wait_alu 0xfffd
	v_add_co_ci_u32_e32 v5, vcc_lo, s9, v5, vcc_lo
	global_load_b128 v[50:53], v[4:5], off offset:2480
	v_lshlrev_b64_e32 v[4:5], 2, v[12:13]
	v_lshlrev_b32_e32 v12, 2, v6
	s_delay_alu instid0(VALU_DEP_2) | instskip(SKIP_1) | instid1(VALU_DEP_3)
	v_add_co_u32 v4, vcc_lo, s8, v4
	s_wait_alu 0xfffd
	v_add_co_ci_u32_e32 v5, vcc_lo, s9, v5, vcc_lo
	global_load_b128 v[54:57], v[4:5], off offset:2480
	v_lshlrev_b64_e32 v[4:5], 2, v[12:13]
	s_delay_alu instid0(VALU_DEP_1) | instskip(SKIP_1) | instid1(VALU_DEP_2)
	v_add_co_u32 v4, vcc_lo, s8, v4
	s_wait_alu 0xfffd
	v_add_co_ci_u32_e32 v5, vcc_lo, s9, v5, vcc_lo
	v_add_co_u32 v10, vcc_lo, s6, v10
	s_wait_alu 0xfffd
	v_add_co_ci_u32_e32 v11, vcc_lo, s7, v11, vcc_lo
	global_load_b128 v[4:7], v[4:5], off offset:2480
	ds_load_u16 v58, v15 offset:4750
	ds_load_u16 v59, v15 offset:6000
	;; [unrolled: 1-line block ×24, first 2 shown]
	ds_load_u16 v12, v15
	s_wait_loadcnt 0x4
	v_lshrrev_b32_e32 v88, 16, v46
	v_lshrrev_b32_e32 v89, 16, v47
	;; [unrolled: 1-line block ×4, first 2 shown]
	s_wait_dscnt 0x11
	v_mul_f16_e32 v35, v47, v65
	s_wait_dscnt 0x5
	v_mul_f16_e32 v34, v46, v77
	v_mul_f16_e32 v33, v48, v60
	;; [unrolled: 1-line block ×4, first 2 shown]
	v_fmac_f16_e32 v35, v39, v89
	v_fmac_f16_e32 v34, v37, v88
	;; [unrolled: 1-line block ×4, first 2 shown]
	v_mul_f16_e32 v71, v91, v71
	v_mul_f16_e32 v65, v89, v65
	s_wait_loadcnt 0x3
	v_lshrrev_b32_e32 v15, 16, v0
	v_lshrrev_b32_e32 v16, 16, v1
	v_lshrrev_b32_e32 v82, 16, v2
	v_lshrrev_b32_e32 v83, 16, v3
	v_mul_f16_e32 v84, v1, v61
	v_mul_f16_e32 v85, v0, v66
	;; [unrolled: 1-line block ×5, first 2 shown]
	v_fmac_f16_e32 v84, v40, v16
	v_fmac_f16_e32 v85, v44, v15
	;; [unrolled: 1-line block ×4, first 2 shown]
	v_mul_f16_e32 v15, v15, v66
	v_mul_f16_e32 v16, v16, v61
	;; [unrolled: 1-line block ×3, first 2 shown]
	s_wait_loadcnt 0x2
	v_lshrrev_b32_e32 v61, 16, v50
	v_lshrrev_b32_e32 v66, 16, v51
	;; [unrolled: 1-line block ×4, first 2 shown]
	v_mul_f16_e32 v92, v51, v62
	v_mul_f16_e32 v93, v50, v67
	v_mul_f16_e32 v94, v52, v72
	v_mul_f16_e32 v95, v53, v68
	v_mul_f16_e32 v60, v90, v60
	v_sub_f16_e32 v88, v84, v85
	v_sub_f16_e32 v89, v86, v87
	v_fma_f16 v15, v44, v0, -v15
	v_fma_f16 v90, v45, v3, -v59
	v_add_f16_e32 v0, v85, v87
	v_fma_f16 v59, v40, v1, -v16
	v_fma_f16 v58, v43, v2, -v58
	v_sub_f16_e32 v1, v85, v84
	v_sub_f16_e32 v2, v87, v86
	v_add_f16_e32 v3, v84, v86
	s_wait_dscnt 0x4
	v_add_f16_e32 v16, v85, v78
	v_fmac_f16_e32 v92, v25, v66
	v_fmac_f16_e32 v93, v32, v61
	;; [unrolled: 1-line block ×4, first 2 shown]
	v_mul_f16_e32 v45, v61, v67
	v_mul_f16_e32 v61, v83, v68
	v_mul_f16_e32 v62, v66, v62
	v_mul_f16_e32 v66, v82, v72
	s_wait_loadcnt 0x1
	v_lshrrev_b32_e32 v67, 16, v54
	v_lshrrev_b32_e32 v68, 16, v55
	;; [unrolled: 1-line block ×4, first 2 shown]
	v_mul_f16_e32 v83, v55, v63
	v_mul_f16_e32 v96, v54, v75
	;; [unrolled: 1-line block ×4, first 2 shown]
	v_fma_f16 v40, v37, v46, -v77
	v_fma_f16 v37, v42, v49, -v71
	v_add_f16_e32 v42, v34, v30
	v_fma_f16 v39, v39, v47, -v65
	v_fma_f16 v38, v38, v48, -v60
	v_add_f16_e32 v46, v88, v89
	v_sub_f16_e32 v47, v15, v90
	v_fma_f16 v0, -0.5, v0, v78
	v_sub_f16_e32 v49, v59, v58
	v_add_f16_e32 v60, v1, v2
	v_fma_f16 v1, -0.5, v3, v78
	v_add_f16_e32 v16, v84, v16
	v_add_f16_e32 v77, v15, v90
	;; [unrolled: 1-line block ×4, first 2 shown]
	v_fma_f16 v32, v32, v50, -v45
	v_fma_f16 v53, v41, v53, -v61
	v_add_f16_e32 v41, v93, v95
	v_fma_f16 v50, v25, v51, -v62
	v_fma_f16 v51, v36, v52, -v66
	v_sub_f16_e32 v25, v93, v92
	v_sub_f16_e32 v36, v95, v94
	v_add_f16_e32 v52, v92, v94
	s_wait_dscnt 0x3
	v_add_f16_e32 v61, v93, v79
	v_fmac_f16_e32 v83, v27, v68
	v_fmac_f16_e32 v96, v26, v67
	;; [unrolled: 1-line block ×4, first 2 shown]
	v_mul_f16_e32 v67, v67, v75
	v_mul_f16_e32 v69, v82, v69
	;; [unrolled: 1-line block ×4, first 2 shown]
	s_wait_loadcnt 0x0
	v_lshrrev_b32_e32 v72, 16, v4
	v_lshrrev_b32_e32 v82, 16, v7
	v_mul_f16_e32 v101, v4, v76
	v_sub_f16_e32 v91, v84, v86
	v_sub_f16_e32 v65, v59, v15
	;; [unrolled: 1-line block ×7, first 2 shown]
	v_lshrrev_b32_e32 v73, 16, v5
	v_lshrrev_b32_e32 v75, 16, v6
	v_mul_f16_e32 v93, v5, v64
	v_mul_f16_e32 v102, v6, v74
	;; [unrolled: 1-line block ×3, first 2 shown]
	s_wait_dscnt 0x0
	v_fma_f16 v45, -0.5, v42, v12
	v_fmamk_f16 v3, v49, 0xbb9c, v0
	v_fmac_f16_e32 v0, 0x3b9c, v49
	v_fmamk_f16 v2, v47, 0x3b9c, v1
	v_fmac_f16_e32 v1, 0xbb9c, v47
	v_add_f16_e32 v42, v86, v16
	v_fma_f16 v15, -0.5, v77, v22
	v_fma_f16 v16, -0.5, v88, v22
	v_add_f16_e32 v59, v59, v89
	v_fma_f16 v22, -0.5, v41, v79
	v_add_f16_e32 v86, v25, v36
	;; [unrolled: 2-line block ×3, first 2 shown]
	v_sub_f16_e32 v41, v50, v32
	v_sub_f16_e32 v52, v51, v53
	v_add_f16_e32 v61, v32, v53
	v_sub_f16_e32 v79, v32, v50
	v_sub_f16_e32 v88, v53, v51
	v_fma_f16 v54, v26, v54, -v67
	v_fma_f16 v57, v31, v57, -v69
	v_add_f16_e32 v67, v96, v98
	v_fma_f16 v55, v27, v55, -v63
	v_fma_f16 v56, v29, v56, -v68
	v_sub_f16_e32 v63, v96, v83
	v_sub_f16_e32 v68, v98, v97
	v_add_f16_e32 v69, v83, v97
	v_add_f16_e32 v104, v96, v80
	v_fmac_f16_e32 v101, v21, v72
	v_mul_f16_e32 v72, v72, v76
	v_mul_f16_e32 v70, v82, v70
	v_sub_f16_e32 v100, v94, v95
	v_sub_f16_e32 v62, v92, v94
	v_add_f16_e32 v65, v65, v71
	v_add_f16_e32 v71, v78, v84
	v_sub_f16_e32 v84, v50, v51
	v_add_f16_e32 v89, v50, v51
	v_add_f16_e32 v92, v28, v32
	v_fmac_f16_e32 v93, v23, v73
	v_fmac_f16_e32 v102, v20, v75
	;; [unrolled: 1-line block ×3, first 2 shown]
	v_mul_f16_e32 v64, v73, v64
	v_mul_f16_e32 v73, v75, v74
	v_fmac_f16_e32 v3, 0x38b4, v47
	v_fmac_f16_e32 v0, 0xb8b4, v47
	v_fmac_f16_e32 v2, 0x38b4, v49
	v_fmac_f16_e32 v1, 0xb8b4, v49
	v_add_f16_e32 v29, v87, v42
	v_add_f16_e32 v47, v59, v58
	;; [unrolled: 1-line block ×4, first 2 shown]
	v_fma_f16 v36, -0.5, v61, v28
	v_add_f16_e32 v61, v79, v88
	v_sub_f16_e32 v52, v54, v57
	v_fma_f16 v41, -0.5, v67, v80
	v_add_f16_e32 v63, v63, v68
	v_fma_f16 v42, -0.5, v69, v80
	v_add_f16_e32 v68, v83, v104
	v_sub_f16_e32 v69, v55, v54
	v_add_f16_e32 v76, v54, v57
	v_sub_f16_e32 v79, v54, v55
	v_sub_f16_e32 v80, v57, v56
	v_add_f16_e32 v54, v19, v54
	v_fma_f16 v72, v21, v4, -v72
	v_fma_f16 v59, v24, v7, -v70
	v_sub_f16_e32 v85, v85, v87
	v_add_f16_e32 v77, v99, v100
	v_sub_f16_e32 v78, v32, v53
	v_sub_f16_e32 v99, v83, v96
	;; [unrolled: 1-line block ×4, first 2 shown]
	v_fmamk_f16 v32, v84, 0xbb9c, v22
	v_fmac_f16_e32 v22, 0x3b9c, v84
	v_fma_f16 v28, -0.5, v89, v28
	v_add_f16_e32 v50, v50, v92
	v_sub_f16_e32 v67, v55, v56
	v_sub_f16_e32 v75, v56, v57
	;; [unrolled: 1-line block ×4, first 2 shown]
	v_add_f16_e32 v70, v101, v103
	v_fma_f16 v64, v23, v5, -v64
	v_fma_f16 v73, v20, v6, -v73
	v_add_f16_e32 v92, v93, v102
	v_add_f16_e32 v94, v101, v81
	;; [unrolled: 1-line block ×3, first 2 shown]
	v_fmamk_f16 v20, v52, 0x3b9c, v42
	v_fmac_f16_e32 v42, 0xbb9c, v52
	v_add_f16_e32 v47, v97, v68
	v_fma_f16 v23, -0.5, v76, v19
	v_add_f16_e32 v68, v79, v80
	v_add_f16_e32 v54, v55, v54
	;; [unrolled: 1-line block ×3, first 2 shown]
	v_sub_f16_e32 v96, v96, v98
	v_fmamk_f16 v27, v91, 0x3b9c, v15
	v_fmac_f16_e32 v15, 0xbb9c, v91
	v_fmamk_f16 v31, v78, 0x3b9c, v25
	v_fmac_f16_e32 v25, 0xbb9c, v78
	v_add_f16_e32 v74, v99, v100
	v_add_f16_e32 v82, v55, v56
	v_sub_f16_e32 v99, v93, v102
	v_fmac_f16_e32 v3, 0x34f2, v46
	v_fmac_f16_e32 v0, 0x34f2, v46
	;; [unrolled: 1-line block ×6, first 2 shown]
	v_add_f16_e32 v7, v95, v49
	v_fmamk_f16 v6, v62, 0x3b9c, v36
	v_fmac_f16_e32 v36, 0xbb9c, v62
	v_fmamk_f16 v5, v66, 0xbb9c, v28
	v_fmac_f16_e32 v28, 0x3b9c, v66
	v_add_f16_e32 v46, v50, v51
	v_add_f16_e32 v60, v69, v75
	;; [unrolled: 1-line block ×3, first 2 shown]
	v_sub_f16_e32 v75, v72, v59
	v_fma_f16 v50, -0.5, v70, v81
	v_fma_f16 v51, -0.5, v92, v81
	v_add_f16_e32 v55, v93, v94
	v_sub_f16_e32 v78, v64, v72
	v_sub_f16_e32 v81, v72, v64
	v_add_f16_e32 v83, v64, v73
	v_add_f16_e32 v72, v18, v72
	v_fmac_f16_e32 v20, 0x38b4, v67
	v_fmac_f16_e32 v42, 0xb8b4, v67
	v_add_f16_e32 v49, v98, v47
	v_fmamk_f16 v47, v105, 0x3b9c, v23
	v_fmac_f16_e32 v23, 0xbb9c, v105
	v_add_f16_e32 v56, v54, v56
	v_fma_f16 v54, -0.5, v80, v18
	v_sub_f16_e32 v43, v35, v34
	v_sub_f16_e32 v44, v33, v30
	;; [unrolled: 1-line block ×4, first 2 shown]
	v_fmac_f16_e32 v27, 0xb8b4, v85
	v_fmac_f16_e32 v15, 0x38b4, v85
	v_sub_f16_e32 v70, v64, v73
	v_sub_f16_e32 v79, v73, v59
	v_fmac_f16_e32 v6, 0xb8b4, v66
	v_fmac_f16_e32 v36, 0x38b4, v66
	;; [unrolled: 1-line block ×4, first 2 shown]
	v_add_f16_e32 v62, v102, v55
	v_fma_f16 v55, -0.5, v83, v18
	v_add_f16_e32 v64, v64, v72
	v_fmac_f16_e32 v20, 0x34f2, v63
	v_fmac_f16_e32 v42, 0x34f2, v63
	;; [unrolled: 1-line block ×4, first 2 shown]
	v_add_f16_e32 v18, v56, v57
	v_fmamk_f16 v57, v99, 0x3b9c, v54
	v_fmac_f16_e32 v54, 0xbb9c, v99
	v_add_f16_e32 v63, v35, v33
	v_fmac_f16_e32 v27, 0x34f2, v65
	v_fmac_f16_e32 v15, 0x34f2, v65
	v_add_f16_e32 v65, v78, v79
	v_fmac_f16_e32 v6, 0x34f2, v58
	v_fmac_f16_e32 v36, 0x34f2, v58
	;; [unrolled: 1-line block ×4, first 2 shown]
	v_add_f16_e32 v58, v103, v62
	v_add_f16_e32 v61, v64, v73
	v_fmac_f16_e32 v47, 0x34f2, v60
	v_fmac_f16_e32 v23, 0x34f2, v60
	;; [unrolled: 1-line block ×4, first 2 shown]
	v_sub_f16_e32 v60, v40, v37
	v_fmamk_f16 v62, v48, 0xbb9c, v45
	v_fmac_f16_e32 v45, 0x3b9c, v48
	v_add_f16_e32 v43, v43, v44
	v_fma_f16 v44, -0.5, v63, v12
	v_add_f16_e32 v12, v34, v12
	v_fma_f16 v24, -0.5, v82, v19
	v_sub_f16_e32 v82, v59, v73
	v_fmac_f16_e32 v57, 0x34f2, v65
	v_fmac_f16_e32 v54, 0x34f2, v65
	v_add_f16_e32 v59, v61, v59
	v_fmac_f16_e32 v62, 0x38b4, v60
	v_fmac_f16_e32 v45, 0xb8b4, v60
	v_sub_f16_e32 v61, v34, v35
	v_sub_f16_e32 v63, v30, v33
	v_add_f16_e32 v65, v40, v37
	v_add_f16_e32 v12, v35, v12
	v_fmac_f16_e32 v62, 0x34f2, v43
	v_fmamk_f16 v64, v60, 0x3b9c, v44
	v_fmac_f16_e32 v45, 0x34f2, v43
	v_add_f16_e32 v43, v61, v63
	v_fma_f16 v61, -0.5, v65, v17
	v_sub_f16_e32 v63, v35, v33
	v_fmac_f16_e32 v44, 0xbb9c, v60
	v_add_f16_e32 v12, v33, v12
	v_fmac_f16_e32 v64, 0x38b4, v48
	v_sub_f16_e32 v35, v39, v40
	v_sub_f16_e32 v60, v38, v37
	v_fmamk_f16 v65, v63, 0x3b9c, v61
	v_sub_f16_e32 v34, v34, v30
	v_fmac_f16_e32 v44, 0xb8b4, v48
	v_fmac_f16_e32 v61, 0xbb9c, v63
	v_add_f16_e32 v12, v30, v12
	v_add_f16_e32 v30, v39, v38
	v_mul_hi_u32 v48, 0xd1b71759, v14
	v_fmac_f16_e32 v64, 0x34f2, v43
	v_add_f16_e32 v33, v35, v60
	v_fmac_f16_e32 v65, 0xb8b4, v34
	v_fmac_f16_e32 v44, 0x34f2, v43
	;; [unrolled: 1-line block ×3, first 2 shown]
	v_sub_f16_e32 v35, v40, v39
	v_sub_f16_e32 v43, v37, v38
	v_fma_f16 v30, -0.5, v30, v17
	v_add_f16_e32 v17, v17, v40
	v_fmac_f16_e32 v65, 0x34f2, v33
	v_fmac_f16_e32 v61, 0x34f2, v33
	v_add_f16_e32 v33, v35, v43
	v_fmamk_f16 v35, v34, 0xbb9c, v30
	v_fmac_f16_e32 v30, 0x3b9c, v34
	v_add_f16_e32 v17, v39, v17
	v_add_nc_u32_e32 v34, 0x7d, v14
	v_lshrrev_b32_e32 v39, 9, v48
	v_fmac_f16_e32 v35, 0xb8b4, v63
	v_fmac_f16_e32 v30, 0x38b4, v63
	v_add_f16_e32 v17, v17, v38
	v_mul_hi_u32 v38, 0xd1b71759, v34
	v_mul_u32_u24_e32 v39, 0x271, v39
	v_fmac_f16_e32 v35, 0x34f2, v33
	v_fmac_f16_e32 v30, 0x34f2, v33
	v_add_f16_e32 v17, v17, v37
	v_add_co_u32 v48, vcc_lo, v10, v8
	v_sub_nc_u32_e32 v33, v14, v39
	v_lshrrev_b32_e32 v37, 9, v38
	s_wait_alu 0xfffd
	v_add_co_ci_u32_e32 v60, vcc_lo, v11, v9, vcc_lo
	v_pack_b32_f16 v17, v17, v12
	v_lshlrev_b32_e32 v33, 2, v33
	v_mul_u32_u24_e32 v38, 0x271, v37
	v_pack_b32_f16 v30, v30, v44
	v_pack_b32_f16 v35, v35, v64
	v_fmamk_f16 v21, v67, 0xbb9c, v41
	v_add_co_u32 v8, vcc_lo, v48, v33
	s_wait_alu 0xfffd
	v_add_co_ci_u32_e32 v9, vcc_lo, 0, v60, vcc_lo
	v_sub_nc_u32_e32 v10, v34, v38
	v_pack_b32_f16 v33, v61, v45
	v_pack_b32_f16 v34, v65, v62
	s_clause 0x4
	global_store_b32 v[8:9], v17, off
	global_store_b32 v[8:9], v30, off offset:2500
	global_store_b32 v[8:9], v33, off offset:5000
	;; [unrolled: 1-line block ×4, first 2 shown]
	v_dual_mov_b32 v34, v13 :: v_dual_add_nc_u32 v17, 0xfa, v14
	v_mov_b32_e32 v38, v13
	v_mad_u32_u24 v12, 0xc35, v37, v10
	v_fmac_f16_e32 v41, 0x3b9c, v67
	v_mov_b32_e32 v9, v13
	v_mul_hi_u32 v35, 0xd1b71759, v17
	v_sub_f16_e32 v88, v101, v93
	v_add_nc_u32_e32 v8, 0x271, v12
	v_lshlrev_b64_e32 v[10:11], 2, v[12:13]
	v_add_nc_u32_e32 v33, 0x4e2, v12
	v_sub_f16_e32 v89, v103, v102
	v_fmac_f16_e32 v21, 0x38b4, v52
	v_fmac_f16_e32 v41, 0xb8b4, v52
	v_fmamk_f16 v52, v75, 0x3b9c, v51
	v_fmac_f16_e32 v51, 0xbb9c, v75
	v_fmamk_f16 v56, v100, 0xbb9c, v55
	v_fmac_f16_e32 v55, 0x3b9c, v100
	v_add_f16_e32 v19, v46, v53
	v_fmamk_f16 v53, v70, 0xbb9c, v50
	v_fmac_f16_e32 v50, 0x3b9c, v70
	v_lshlrev_b64_e32 v[8:9], 2, v[8:9]
	v_add_nc_u32_e32 v37, 0x753, v12
	v_lshrrev_b32_e32 v35, 9, v35
	v_add_co_u32 v10, vcc_lo, v48, v10
	v_lshlrev_b64_e32 v[33:34], 2, v[33:34]
	v_add_f16_e32 v76, v88, v89
	v_add_f16_e32 v66, v81, v82
	v_fmac_f16_e32 v51, 0xb8b4, v70
	v_fmac_f16_e32 v55, 0x38b4, v99
	v_add_nc_u32_e32 v12, 0x9c4, v12
	v_fmac_f16_e32 v50, 0xb8b4, v75
	s_wait_alu 0xfffd
	v_add_co_ci_u32_e32 v11, vcc_lo, v60, v11, vcc_lo
	v_fmac_f16_e32 v53, 0x38b4, v75
	v_add_co_u32 v8, vcc_lo, v48, v8
	v_lshlrev_b64_e32 v[37:38], 2, v[37:38]
	v_fmac_f16_e32 v52, 0x38b4, v70
	v_fmac_f16_e32 v56, 0xb8b4, v99
	v_mul_u32_u24_e32 v43, 0x271, v35
	s_wait_alu 0xfffd
	v_add_co_ci_u32_e32 v9, vcc_lo, v60, v9, vcc_lo
	v_fmac_f16_e32 v51, 0x34f2, v76
	v_fmac_f16_e32 v55, 0x34f2, v66
	v_add_co_u32 v33, vcc_lo, v48, v33
	v_lshlrev_b64_e32 v[39:40], 2, v[12:13]
	v_fmac_f16_e32 v50, 0x34f2, v69
	v_fmac_f16_e32 v53, 0x34f2, v69
	s_wait_alu 0xfffd
	v_add_co_ci_u32_e32 v34, vcc_lo, v60, v34, vcc_lo
	v_fmac_f16_e32 v52, 0x34f2, v76
	v_fmac_f16_e32 v56, 0x34f2, v66
	v_sub_nc_u32_e32 v12, v17, v43
	v_add_co_u32 v37, vcc_lo, v48, v37
	v_pack_b32_f16 v30, v59, v58
	v_pack_b32_f16 v45, v55, v51
	s_wait_alu 0xfffd
	v_add_co_ci_u32_e32 v38, vcc_lo, v60, v38, vcc_lo
	v_pack_b32_f16 v50, v54, v50
	v_add_co_u32 v39, vcc_lo, v48, v39
	v_pack_b32_f16 v17, v57, v53
	v_mad_u32_u24 v12, 0xc35, v35, v12
	s_wait_alu 0xfffd
	v_add_co_ci_u32_e32 v40, vcc_lo, v60, v40, vcc_lo
	v_pack_b32_f16 v35, v56, v52
	s_clause 0x4
	global_store_b32 v[10:11], v30, off
	global_store_b32 v[8:9], v45, off
	;; [unrolled: 1-line block ×5, first 2 shown]
	v_mov_b32_e32 v34, v13
	v_add_nc_u32_e32 v30, 0x177, v14
	v_fmamk_f16 v46, v96, 0xbb9c, v24
	v_fmac_f16_e32 v24, 0x3b9c, v96
	v_dual_mov_b32 v9, v13 :: v_dual_add_nc_u32 v8, 0x271, v12
	s_delay_alu instid0(VALU_DEP_4) | instskip(SKIP_1) | instid1(VALU_DEP_4)
	v_mul_hi_u32 v37, 0xd1b71759, v30
	v_lshlrev_b64_e32 v[43:44], 2, v[12:13]
	v_fmac_f16_e32 v24, 0x38b4, v105
	v_pack_b32_f16 v35, v18, v49
	v_dual_mov_b32 v18, v13 :: v_dual_add_nc_u32 v17, 0x4e2, v12
	v_lshlrev_b64_e32 v[8:9], 2, v[8:9]
	v_add_nc_u32_e32 v33, 0x753, v12
	v_lshrrev_b32_e32 v37, 9, v37
	v_fmac_f16_e32 v41, 0x34f2, v74
	v_fmac_f16_e32 v24, 0x34f2, v68
	v_add_co_u32 v10, vcc_lo, v48, v43
	v_lshlrev_b64_e32 v[17:18], 2, v[17:18]
	v_add_nc_u32_e32 v12, 0x9c4, v12
	v_mul_u32_u24_e32 v39, 0x271, v37
	s_wait_alu 0xfffd
	v_add_co_ci_u32_e32 v11, vcc_lo, v60, v44, vcc_lo
	v_add_co_u32 v8, vcc_lo, v48, v8
	v_lshlrev_b64_e32 v[33:34], 2, v[33:34]
	v_fmac_f16_e32 v46, 0xb8b4, v105
	s_wait_alu 0xfffd
	v_add_co_ci_u32_e32 v9, vcc_lo, v60, v9, vcc_lo
	v_pack_b32_f16 v38, v24, v42
	v_pack_b32_f16 v40, v23, v41
	v_lshlrev_b64_e32 v[23:24], 2, v[12:13]
	v_sub_nc_u32_e32 v12, v30, v39
	v_add_co_u32 v17, vcc_lo, v48, v17
	v_fmac_f16_e32 v21, 0x34f2, v74
	s_wait_alu 0xfffd
	v_add_co_ci_u32_e32 v18, vcc_lo, v60, v18, vcc_lo
	v_fmac_f16_e32 v46, 0x34f2, v68
	v_add_co_u32 v33, vcc_lo, v48, v33
	v_mad_u32_u24 v12, 0xc35, v37, v12
	s_wait_alu 0xfffd
	v_add_co_ci_u32_e32 v34, vcc_lo, v60, v34, vcc_lo
	v_add_co_u32 v23, vcc_lo, v48, v23
	v_pack_b32_f16 v30, v47, v21
	s_wait_alu 0xfffd
	v_add_co_ci_u32_e32 v24, vcc_lo, v60, v24, vcc_lo
	v_pack_b32_f16 v37, v46, v20
	v_lshlrev_b64_e32 v[20:21], 2, v[12:13]
	s_clause 0x4
	global_store_b32 v[10:11], v35, off
	global_store_b32 v[8:9], v38, off
	global_store_b32 v[17:18], v40, off
	global_store_b32 v[33:34], v30, off
	global_store_b32 v[23:24], v37, off
	v_dual_mov_b32 v9, v13 :: v_dual_add_nc_u32 v8, 0x271, v12
	v_dual_mov_b32 v18, v13 :: v_dual_add_nc_u32 v17, 0x4e2, v12
	v_fmac_f16_e32 v25, 0xb8b4, v84
	v_pack_b32_f16 v23, v19, v7
	s_delay_alu instid0(VALU_DEP_4)
	v_lshlrev_b64_e32 v[7:8], 2, v[8:9]
	v_add_co_u32 v10, vcc_lo, v48, v20
	v_dual_mov_b32 v20, v13 :: v_dual_add_nc_u32 v19, 0x753, v12
	v_lshlrev_b64_e32 v[17:18], 2, v[17:18]
	v_fmac_f16_e32 v22, 0x34f2, v77
	v_fmac_f16_e32 v25, 0x34f2, v86
	v_add_nc_u32_e32 v12, 0x9c4, v12
	s_wait_alu 0xfffd
	v_add_co_ci_u32_e32 v11, vcc_lo, v60, v21, vcc_lo
	v_add_co_u32 v7, vcc_lo, v48, v7
	v_lshlrev_b64_e32 v[19:20], 2, v[19:20]
	v_fmac_f16_e32 v31, 0x38b4, v84
	s_wait_alu 0xfffd
	v_add_co_ci_u32_e32 v8, vcc_lo, v60, v8, vcc_lo
	v_pack_b32_f16 v24, v28, v25
	v_add_co_u32 v17, vcc_lo, v48, v17
	v_pack_b32_f16 v25, v36, v22
	v_lshlrev_b64_e32 v[21:22], 2, v[12:13]
	v_fmac_f16_e32 v32, 0x34f2, v77
	s_wait_alu 0xfffd
	v_add_co_ci_u32_e32 v18, vcc_lo, v60, v18, vcc_lo
	v_fmac_f16_e32 v31, 0x34f2, v86
	v_add_co_u32 v19, vcc_lo, v48, v19
	v_add_nc_u32_e32 v9, 0x1f4, v14
	s_wait_alu 0xfffd
	v_add_co_ci_u32_e32 v20, vcc_lo, v60, v20, vcc_lo
	v_add_co_u32 v21, vcc_lo, v48, v21
	v_pack_b32_f16 v6, v6, v32
	s_wait_alu 0xfffd
	v_add_co_ci_u32_e32 v22, vcc_lo, v60, v22, vcc_lo
	v_pack_b32_f16 v5, v5, v31
	s_clause 0x4
	global_store_b32 v[10:11], v23, off
	global_store_b32 v[7:8], v24, off
	;; [unrolled: 1-line block ×5, first 2 shown]
	v_mov_b32_e32 v8, v13
	v_mul_hi_u32 v14, 0xd1b71759, v9
	v_fmamk_f16 v26, v85, 0xbb9c, v16
	v_fmac_f16_e32 v16, 0x3b9c, v85
	v_mov_b32_e32 v10, v13
	v_mov_b32_e32 v18, v13
	v_pack_b32_f16 v15, v15, v0
	v_fmac_f16_e32 v26, 0xb8b4, v91
	v_fmac_f16_e32 v16, 0x38b4, v91
	v_lshrrev_b32_e32 v14, 9, v14
	v_pack_b32_f16 v4, v4, v29
	v_pack_b32_f16 v3, v27, v3
	v_fmac_f16_e32 v26, 0x34f2, v71
	v_fmac_f16_e32 v16, 0x34f2, v71
	v_mul_u32_u24_e32 v12, 0x271, v14
	s_delay_alu instid0(VALU_DEP_3) | instskip(NEXT) | instid1(VALU_DEP_2)
	v_pack_b32_f16 v2, v26, v2
	v_sub_nc_u32_e32 v9, v9, v12
	s_delay_alu instid0(VALU_DEP_1) | instskip(SKIP_1) | instid1(VALU_DEP_2)
	v_mad_u32_u24 v12, 0xc35, v14, v9
	v_pack_b32_f16 v14, v16, v1
	v_add_nc_u32_e32 v7, 0x271, v12
	v_lshlrev_b64_e32 v[5:6], 2, v[12:13]
	v_add_nc_u32_e32 v9, 0x4e2, v12
	v_add_nc_u32_e32 v17, 0x753, v12
	;; [unrolled: 1-line block ×3, first 2 shown]
	v_lshlrev_b64_e32 v[7:8], 2, v[7:8]
	v_add_co_u32 v5, vcc_lo, v48, v5
	v_lshlrev_b64_e32 v[9:10], 2, v[9:10]
	s_wait_alu 0xfffd
	v_add_co_ci_u32_e32 v6, vcc_lo, v60, v6, vcc_lo
	s_delay_alu instid0(VALU_DEP_4)
	v_add_co_u32 v7, vcc_lo, v48, v7
	v_lshlrev_b64_e32 v[16:17], 2, v[17:18]
	s_wait_alu 0xfffd
	v_add_co_ci_u32_e32 v8, vcc_lo, v60, v8, vcc_lo
	v_add_co_u32 v9, vcc_lo, v48, v9
	v_lshlrev_b64_e32 v[0:1], 2, v[12:13]
	s_wait_alu 0xfffd
	v_add_co_ci_u32_e32 v10, vcc_lo, v60, v10, vcc_lo
	v_add_co_u32 v11, vcc_lo, v48, v16
	s_wait_alu 0xfffd
	v_add_co_ci_u32_e32 v12, vcc_lo, v60, v17, vcc_lo
	v_add_co_u32 v0, vcc_lo, v48, v0
	s_wait_alu 0xfffd
	v_add_co_ci_u32_e32 v1, vcc_lo, v60, v1, vcc_lo
	s_clause 0x4
	global_store_b32 v[5:6], v4, off
	global_store_b32 v[7:8], v14, off
	;; [unrolled: 1-line block ×5, first 2 shown]
.LBB0_15:
	s_nop 0
	s_sendmsg sendmsg(MSG_DEALLOC_VGPRS)
	s_endpgm
	.section	.rodata,"a",@progbits
	.p2align	6, 0x0
	.amdhsa_kernel fft_rtc_fwd_len3125_factors_5_5_5_5_5_wgs_125_tpt_125_halfLds_half_op_CI_CI_unitstride_sbrr_dirReg
		.amdhsa_group_segment_fixed_size 0
		.amdhsa_private_segment_fixed_size 0
		.amdhsa_kernarg_size 104
		.amdhsa_user_sgpr_count 2
		.amdhsa_user_sgpr_dispatch_ptr 0
		.amdhsa_user_sgpr_queue_ptr 0
		.amdhsa_user_sgpr_kernarg_segment_ptr 1
		.amdhsa_user_sgpr_dispatch_id 0
		.amdhsa_user_sgpr_private_segment_size 0
		.amdhsa_wavefront_size32 1
		.amdhsa_uses_dynamic_stack 0
		.amdhsa_enable_private_segment 0
		.amdhsa_system_sgpr_workgroup_id_x 1
		.amdhsa_system_sgpr_workgroup_id_y 0
		.amdhsa_system_sgpr_workgroup_id_z 0
		.amdhsa_system_sgpr_workgroup_info 0
		.amdhsa_system_vgpr_workitem_id 0
		.amdhsa_next_free_vgpr 106
		.amdhsa_next_free_sgpr 39
		.amdhsa_reserve_vcc 1
		.amdhsa_float_round_mode_32 0
		.amdhsa_float_round_mode_16_64 0
		.amdhsa_float_denorm_mode_32 3
		.amdhsa_float_denorm_mode_16_64 3
		.amdhsa_fp16_overflow 0
		.amdhsa_workgroup_processor_mode 1
		.amdhsa_memory_ordered 1
		.amdhsa_forward_progress 0
		.amdhsa_round_robin_scheduling 0
		.amdhsa_exception_fp_ieee_invalid_op 0
		.amdhsa_exception_fp_denorm_src 0
		.amdhsa_exception_fp_ieee_div_zero 0
		.amdhsa_exception_fp_ieee_overflow 0
		.amdhsa_exception_fp_ieee_underflow 0
		.amdhsa_exception_fp_ieee_inexact 0
		.amdhsa_exception_int_div_zero 0
	.end_amdhsa_kernel
	.text
.Lfunc_end0:
	.size	fft_rtc_fwd_len3125_factors_5_5_5_5_5_wgs_125_tpt_125_halfLds_half_op_CI_CI_unitstride_sbrr_dirReg, .Lfunc_end0-fft_rtc_fwd_len3125_factors_5_5_5_5_5_wgs_125_tpt_125_halfLds_half_op_CI_CI_unitstride_sbrr_dirReg
                                        ; -- End function
	.section	.AMDGPU.csdata,"",@progbits
; Kernel info:
; codeLenInByte = 19060
; NumSgprs: 41
; NumVgprs: 106
; ScratchSize: 0
; MemoryBound: 0
; FloatMode: 240
; IeeeMode: 1
; LDSByteSize: 0 bytes/workgroup (compile time only)
; SGPRBlocks: 5
; VGPRBlocks: 13
; NumSGPRsForWavesPerEU: 41
; NumVGPRsForWavesPerEU: 106
; Occupancy: 12
; WaveLimiterHint : 1
; COMPUTE_PGM_RSRC2:SCRATCH_EN: 0
; COMPUTE_PGM_RSRC2:USER_SGPR: 2
; COMPUTE_PGM_RSRC2:TRAP_HANDLER: 0
; COMPUTE_PGM_RSRC2:TGID_X_EN: 1
; COMPUTE_PGM_RSRC2:TGID_Y_EN: 0
; COMPUTE_PGM_RSRC2:TGID_Z_EN: 0
; COMPUTE_PGM_RSRC2:TIDIG_COMP_CNT: 0
	.text
	.p2alignl 7, 3214868480
	.fill 96, 4, 3214868480
	.type	__hip_cuid_d994112699b82f5d,@object ; @__hip_cuid_d994112699b82f5d
	.section	.bss,"aw",@nobits
	.globl	__hip_cuid_d994112699b82f5d
__hip_cuid_d994112699b82f5d:
	.byte	0                               ; 0x0
	.size	__hip_cuid_d994112699b82f5d, 1

	.ident	"AMD clang version 19.0.0git (https://github.com/RadeonOpenCompute/llvm-project roc-6.4.0 25133 c7fe45cf4b819c5991fe208aaa96edf142730f1d)"
	.section	".note.GNU-stack","",@progbits
	.addrsig
	.addrsig_sym __hip_cuid_d994112699b82f5d
	.amdgpu_metadata
---
amdhsa.kernels:
  - .args:
      - .actual_access:  read_only
        .address_space:  global
        .offset:         0
        .size:           8
        .value_kind:     global_buffer
      - .offset:         8
        .size:           8
        .value_kind:     by_value
      - .actual_access:  read_only
        .address_space:  global
        .offset:         16
        .size:           8
        .value_kind:     global_buffer
      - .actual_access:  read_only
        .address_space:  global
        .offset:         24
        .size:           8
        .value_kind:     global_buffer
      - .actual_access:  read_only
        .address_space:  global
        .offset:         32
        .size:           8
        .value_kind:     global_buffer
      - .offset:         40
        .size:           8
        .value_kind:     by_value
      - .actual_access:  read_only
        .address_space:  global
        .offset:         48
        .size:           8
        .value_kind:     global_buffer
      - .actual_access:  read_only
        .address_space:  global
        .offset:         56
        .size:           8
        .value_kind:     global_buffer
      - .offset:         64
        .size:           4
        .value_kind:     by_value
      - .actual_access:  read_only
        .address_space:  global
        .offset:         72
        .size:           8
        .value_kind:     global_buffer
      - .actual_access:  read_only
        .address_space:  global
        .offset:         80
        .size:           8
        .value_kind:     global_buffer
      - .actual_access:  read_only
        .address_space:  global
        .offset:         88
        .size:           8
        .value_kind:     global_buffer
      - .actual_access:  write_only
        .address_space:  global
        .offset:         96
        .size:           8
        .value_kind:     global_buffer
    .group_segment_fixed_size: 0
    .kernarg_segment_align: 8
    .kernarg_segment_size: 104
    .language:       OpenCL C
    .language_version:
      - 2
      - 0
    .max_flat_workgroup_size: 125
    .name:           fft_rtc_fwd_len3125_factors_5_5_5_5_5_wgs_125_tpt_125_halfLds_half_op_CI_CI_unitstride_sbrr_dirReg
    .private_segment_fixed_size: 0
    .sgpr_count:     41
    .sgpr_spill_count: 0
    .symbol:         fft_rtc_fwd_len3125_factors_5_5_5_5_5_wgs_125_tpt_125_halfLds_half_op_CI_CI_unitstride_sbrr_dirReg.kd
    .uniform_work_group_size: 1
    .uses_dynamic_stack: false
    .vgpr_count:     106
    .vgpr_spill_count: 0
    .wavefront_size: 32
    .workgroup_processor_mode: 1
amdhsa.target:   amdgcn-amd-amdhsa--gfx1201
amdhsa.version:
  - 1
  - 2
...

	.end_amdgpu_metadata
